;; amdgpu-corpus repo=ROCm/aiter kind=harvested arch=n/a opt=n/a

/root/src/amdgpu-assembly/repos/ROCm__aiter/hsa/gfx942/fmoe_2stages/fmoe_stage1_bf16_pertokenFp8_doweight_g1u1_32x64_4tg_pf3.co:	file format elf64-amdgpu

Disassembly of section .text:

0000000000002a00 <_ZN5aiter56fmoe_stage1_bf16_pertokenFp8_doweight_g1u1_32x64_4tg_pf3E>:
	s_and_b32 s1, s1, 0xffff                                   // 000000002A00: 8601FF01 0000FFFF
	s_load_dwordx2 s[8:9], s[0:1], 0x0                         // 000000002A08: C0060200 00000000
	s_load_dwordx2 s[20:21], s[0:1], 0x10                      // 000000002A10: C0060500 00000010
	s_load_dwordx2 s[24:25], s[0:1], 0x20                      // 000000002A18: C0060600 00000020
	s_load_dwordx2 s[48:49], s[0:1], 0x30                      // 000000002A20: C0060C00 00000030
	s_load_dwordx2 s[28:29], s[0:1], 0x40                      // 000000002A28: C0060700 00000040
	s_load_dwordx2 s[32:33], s[0:1], 0x50                      // 000000002A30: C0060800 00000050
	s_load_dwordx2 s[36:37], s[0:1], 0x60                      // 000000002A38: C0060900 00000060
	s_load_dwordx2 s[12:13], s[0:1], 0x70                      // 000000002A40: C0060300 00000070
	s_load_dwordx2 s[44:45], s[0:1], 0x80                      // 000000002A48: C0060B00 00000080
	s_mov_b32 s89, 0                                           // 000000002A50: BED90080
	s_load_dword s64, s[0:1], 0x90                             // 000000002A54: C0021000 00000090
	s_load_dword s65, s[0:1], 0xa0                             // 000000002A5C: C0021040 000000A0
	s_load_dword s66, s[0:1], 0xb0                             // 000000002A64: C0021080 000000B0
	s_load_dword s67, s[0:1], 0xc0                             // 000000002A6C: C00210C0 000000C0
	s_load_dword s68, s[0:1], 0xd0                             // 000000002A74: C0021100 000000D0
	s_load_dword s69, s[0:1], 0xe0                             // 000000002A7C: C0021140 000000E0
	s_load_dword s71, s[0:1], 0xf0                             // 000000002A84: C00211C0 000000F0
	s_load_dword s72, s[0:1], 0x100                            // 000000002A8C: C0021200 00000100
	s_load_dword s74, s[0:1], 0x110                            // 000000002A94: C0021280 00000110
	s_load_dword s76, s[0:1], 0x120                            // 000000002A9C: C0021300 00000120
	s_load_dword s56, s[0:1], 0x130                            // 000000002AA4: C0020E00 00000130
	s_load_dword s88, s[0:1], 0x140                            // 000000002AAC: C0021600 00000140
	s_load_dword s89, s[0:1], 0x150                            // 000000002AB4: C0021640 00000150
	s_load_dwordx2 s[40:41], s[0:1], 0x160                     // 000000002ABC: C0060A00 00000160
	v_lshrrev_b32_e32 v1, 10, v0                               // 000000002AC4: 2002008A
	v_lshrrev_b32_e32 v2, 10, v1                               // 000000002AC8: 2004028A
	v_and_b32_e32 v2, 0x3ff, v2                                // 000000002ACC: 260404FF 000003FF
	v_and_b32_e32 v1, 0x3ff, v1                                // 000000002AD4: 260202FF 000003FF
	v_and_b32_e32 v0, 0x3ff, v0                                // 000000002ADC: 260000FF 000003FF
	v_lshrrev_b32_e32 v3, 6, v0                                // 000000002AE4: 20060086
	v_and_b32_e32 v0, 63, v0                                   // 000000002AE8: 260000BF
	s_mov_b32 s2, s2                                           // 000000002AEC: BE820002
	s_mov_b32 s3, s3                                           // 000000002AF0: BE830003
	s_mov_b32 s4, s4                                           // 000000002AF4: BE840004
	v_readfirstlane_b32 s7, v3                                 // 000000002AF8: 7E0E0503
	s_waitcnt lgkmcnt(0)                                       // 000000002AFC: BF8CC07F
	s_and_b32 s49, s49, 0xffff                                 // 000000002B00: 8631FF31 0000FFFF
	s_load_dword s48, s[48:49], 0x0                            // 000000002B08: C0020C18 00000000
	s_and_b32 s45, s45, 0xffff                                 // 000000002B10: 862DFF2D 0000FFFF
	s_and_b32 s9, s9, 0xffff                                   // 000000002B18: 8609FF09 0000FFFF
	s_mul_i32 s60, s66, s68                                    // 000000002B20: 923C4442
	s_mul_i32 s61, s66, 4                                      // 000000002B24: 923D8442
	s_mov_b32 s22, s60                                         // 000000002B28: BE96003C
	s_mov_b32 s26, -16                                         // 000000002B2C: BE9A00D0
	s_mov_b32 s30, s61                                         // 000000002B30: BE9E003D
	s_mov_b32 s14, 0x80                                        // 000000002B34: BE8E00FF 00000080
	s_mov_b32 s38, -16                                         // 000000002B3C: BEA600D0
	s_mov_b32 s10, -16                                         // 000000002B40: BE8A00D0
	s_mov_b32 s34, 0x100                                       // 000000002B44: BEA200FF 00000100
	s_mov_b32 s23, 0x20000                                     // 000000002B4C: BE9700FF 00020000
	s_mov_b32 s27, 0x20000                                     // 000000002B54: BE9B00FF 00020000
	s_mov_b32 s31, 0x20000                                     // 000000002B5C: BE9F00FF 00020000
	s_mov_b32 s35, 0x20000                                     // 000000002B64: BEA300FF 00020000
	s_mov_b32 s15, 0x20000                                     // 000000002B6C: BE8F00FF 00020000
	s_mov_b32 s39, 0x20000                                     // 000000002B74: BEA700FF 00020000
	s_mov_b32 s11, 0x20000                                     // 000000002B7C: BE8B00FF 00020000
	s_and_b32 s21, s21, 0xffff                                 // 000000002B84: 8615FF15 0000FFFF
	s_and_b32 s25, s25, 0xffff                                 // 000000002B8C: 8619FF19 0000FFFF
	s_and_b32 s29, s29, 0xffff                                 // 000000002B94: 861DFF1D 0000FFFF
	s_and_b32 s33, s33, 0xffff                                 // 000000002B9C: 8621FF21 0000FFFF
	s_and_b32 s13, s13, 0xffff                                 // 000000002BA4: 860DFF0D 0000FFFF
	s_and_b32 s37, s37, 0xffff                                 // 000000002BAC: 8625FF25 0000FFFF
	s_or_b32 s21, s21, 0x40000                                 // 000000002BB4: 8715FF15 00040000
	s_or_b32 s25, s25, 0x40000                                 // 000000002BBC: 8719FF19 00040000
	s_or_b32 s29, s29, 0x40000                                 // 000000002BC4: 871DFF1D 00040000
	s_or_b32 s33, s33, 0x40000                                 // 000000002BCC: 8721FF21 00040000
	s_or_b32 s13, s13, 0x40000                                 // 000000002BD4: 870DFF0D 00040000
	s_or_b32 s37, s37, 0x40000                                 // 000000002BDC: 8725FF25 00040000
	s_mov_b32 s42, -16                                         // 000000002BE4: BEAA00D0
	s_mov_b32 s43, 0x20000                                     // 000000002BE8: BEAB00FF 00020000
	s_and_b32 s41, s41, 0xffff                                 // 000000002BF0: 8629FF29 0000FFFF
	s_or_b32 s41, s41, 0x40000                                 // 000000002BF8: 8729FF29 00040000
	v_accvgpr_write_b32 a55, 0                                 // 000000002C00: D3D94037 18000080
	v_mov_b32_e32 v61, 0                                       // 000000002C08: 7E7A0280
	s_waitcnt lgkmcnt(0)                                       // 000000002C0C: BF8CC07F
	s_mul_i32 s60, s3, 32                                      // 000000002C10: 923CA003
	s_cmp_lt_i32 s60, s48                                      // 000000002C14: BF04303C
	s_cbranch_scc0 label_0D20                                  // 000000002C18: BF840C96
	s_mov_b32 s80, 0                                           // 000000002C1C: BED00080
	s_lshr_b32 s81, s64, s88                                   // 000000002C20: 8F515840
	s_mul_i32 s60, s3, 4                                       // 000000002C24: 923C8403
	s_add_u32 s44, s60, s44                                    // 000000002C28: 802C2C3C
	s_addc_u32 s45, 0, s45                                     // 000000002C2C: 822D2D80
	s_load_dword s5, s[44:45], 0x0                             // 000000002C30: C0020156 00000000
	s_mul_i32 s60, s3, 32                                      // 000000002C38: 923CA003
	s_mul_i32 s60, 4, s60                                      // 000000002C3C: 923C3C84
	s_add_u32 s12, s60, s12                                    // 000000002C40: 800C0C3C
	s_addc_u32 s13, 0, s13                                     // 000000002C44: 820D0D80
	v_and_b32_e32 v4, 15, v0                                   // 000000002C48: 2608008F
	v_lshlrev_b32_e32 v4, 2, v4                                // 000000002C4C: 24080882
	buffer_load_dword v30, v4, s[12:15], 0 offen               // 000000002C50: E0501000 80031E04
	v_add_u32_e32 v4, 64, v4                                   // 000000002C58: 680808C0
	buffer_load_dword v31, v4, s[12:15], 0 offen               // 000000002C5C: E0501000 80031F04
	v_add_u32_e32 v4, 64, v4                                   // 000000002C64: 680808C0
	s_mul_i32 s60, 4, s7                                       // 000000002C68: 923C0784
	v_lshlrev_b32_e32 v4, 4, v0                                // 000000002C6C: 24080084
	v_add_u32_e32 v4, s60, v4                                  // 000000002C70: 6808083C
	buffer_load_dword v3, v4, s[12:15], 0 offen                // 000000002C74: E0501000 80030304
	v_mov_b32_e32 v44, 0                                       // 000000002C7C: 7E580280
	v_mov_b32_e32 v52, 0                                       // 000000002C80: 7E680280
	v_mov_b32_e32 v45, 0                                       // 000000002C84: 7E5A0280
	v_mov_b32_e32 v53, 0                                       // 000000002C88: 7E6A0280
	v_mov_b32_e32 v46, 0                                       // 000000002C8C: 7E5C0280
	v_mov_b32_e32 v54, 0                                       // 000000002C90: 7E6C0280
	v_mov_b32_e32 v47, 0                                       // 000000002C94: 7E5E0280
	v_mov_b32_e32 v55, 0                                       // 000000002C98: 7E6E0280
	v_mov_b32_e32 v48, 0                                       // 000000002C9C: 7E600280
	v_mov_b32_e32 v56, 0                                       // 000000002CA0: 7E700280
	v_mov_b32_e32 v49, 0                                       // 000000002CA4: 7E620280
	v_mov_b32_e32 v57, 0                                       // 000000002CA8: 7E720280
	v_mov_b32_e32 v50, 0                                       // 000000002CAC: 7E640280
	v_mov_b32_e32 v58, 0                                       // 000000002CB0: 7E740280
	v_mov_b32_e32 v51, 0                                       // 000000002CB4: 7E660280
	v_mov_b32_e32 v59, 0                                       // 000000002CB8: 7E760280
	s_mul_i32 s60, s2, 0x80                                    // 000000002CBC: 923CFF02 00000080
	s_cmp_eq_u32 s88, 0                                        // 000000002CC4: BF068058
	s_cselect_b32 s61, 1, 2                                    // 000000002CC8: 853D8281
	s_mul_i32 s60, s60, s61                                    // 000000002CCC: 923C3D3C
	s_mov_b32 s90, s8                                          // 000000002CD0: BEDA0008
	s_mov_b32 s91, s9                                          // 000000002CD4: BEDB0009
	s_add_u32 s8, s60, s8                                      // 000000002CD8: 8008083C
	s_addc_u32 s9, 0, s9                                       // 000000002CDC: 82090980
	v_lshrrev_b32_e32 v4, 4, v0                                // 000000002CE0: 20080084
	v_mul_lo_u32 v20, 34, v4                                   // 000000002CE4: D2850014 000208A2
	v_and_b32_e32 v4, 15, v0                                   // 000000002CEC: 2608008F
	v_mul_lo_u32 v5, 2, v4                                     // 000000002CF0: D2850005 00020882
	v_add_u32_e32 v20, v5, v20                                 // 000000002CF8: 68282905
	s_mul_i32 s60, s7, 0x88                                    // 000000002CFC: 923CFF07 00000088
	v_add_u32_e32 v20, s60, v20                                // 000000002D04: 6828283C
	v_lshlrev_b32_e32 v20, 2, v20                              // 000000002D08: 24282882
	v_and_b32_e32 v4, 31, v0                                   // 000000002D0C: 2608009F
	v_lshrrev_b32_e32 v4, 1, v4                                // 000000002D10: 20080881
	v_mul_lo_u32 v21, 34, v4                                   // 000000002D14: D2850015 000208A2
	v_lshrrev_b32_e32 v4, 5, v0                                // 000000002D1C: 20080085
	v_mul_lo_u32 v4, 8, v4                                     // 000000002D20: D2850004 00020888
	v_add_u32_e32 v21, v21, v4                                 // 000000002D28: 682A0915
	v_and_b32_e32 v5, 1, v0                                    // 000000002D2C: 260A0081
	v_add_u32_e32 v21, v5, v21                                 // 000000002D30: 682A2B05
	s_mul_i32 s60, s7, 2                                       // 000000002D34: 923C8207
	v_add_u32_e32 v21, s60, v21                                // 000000002D38: 682A2A3C
	v_lshlrev_b32_e32 v21, 2, v21                              // 000000002D3C: 242A2A82
	s_mul_i32 s60, s7, 0x420                                   // 000000002D40: 923CFF07 00000420
	s_add_u32 s48, 0, s60                                      // 000000002D48: 80303C80
	s_add_u32 s49, 0x1080, s48                                 // 000000002D4C: 803130FF 00001080
	s_add_u32 s50, 0x1080, s49                                 // 000000002D54: 803231FF 00001080
	v_lshrrev_b32_e32 v4, 4, v0                                // 000000002D5C: 20080084
	v_lshlrev_b32_e32 v5, 2, v4                                // 000000002D60: 240A0882
	v_and_b32_e32 v4, 15, v0                                   // 000000002D64: 2608008F
	v_lshrrev_b32_e32 v6, 2, v4                                // 000000002D68: 200C0882
	v_lshlrev_b32_e32 v6, 5, v6                                // 000000002D6C: 240C0C85
	v_add_u32_e32 v5, v6, v5                                   // 000000002D70: 680A0B06
	v_and_b32_e32 v4, 3, v0                                    // 000000002D74: 26080083
	v_mul_u32_u24_e32 v6, 0x108, v4                            // 000000002D78: 100C08FF 00000108
	v_add_u32_e32 v5, v6, v5                                   // 000000002D80: 680A0B06
	v_lshlrev_b32_e32 v2, 2, v5                                // 000000002D84: 24040A82
	s_waitcnt lgkmcnt(0)                                       // 000000002D88: BF8CC07F
	s_mul_i32 s60, s2, 64                                      // 000000002D8C: 923CC002
	s_mul_i32 s60, s60, s69                                    // 000000002D90: 923C453C
	s_mul_i32 s61, s5, s72                                     // 000000002D94: 923D4805
	s_add_u32 s60, s61, s60                                    // 000000002D98: 803C3C3D
	s_add_u32 s24, s60, s24                                    // 000000002D9C: 8018183C
	s_addc_u32 s25, 0, s25                                     // 000000002DA0: 82191980
	s_lshr_b32 s60, s64, s88                                   // 000000002DA4: 8F3C5840
	s_mul_i32 s60, s4, s60                                     // 000000002DA8: 923C3C04
	s_lshr_b32 s60, s60, 7                                     // 000000002DAC: 8F3C873C
	s_mul_i32 s60, s60, 0x800                                  // 000000002DB0: 923CFF3C 00000800
	s_add_u32 s24, s60, s24                                    // 000000002DB8: 8018183C
	s_addc_u32 s25, 0, s25                                     // 000000002DBC: 82191980
	s_lshr_b32 s60, s69, s88                                   // 000000002DC0: 8F3C5845
	s_mul_i32 s60, s4, s60                                     // 000000002DC4: 923C3C04
	s_add_u32 s20, s60, s20                                    // 000000002DC8: 8014143C
	s_addc_u32 s21, 0, s21                                     // 000000002DCC: 82151580
	s_mul_i32 s60, s7, 16                                      // 000000002DD0: 923C9007
	s_mul_i32 s60, s60, s69                                    // 000000002DD4: 923C453C
	v_lshlrev_b32_e32 v42, 4, v0                               // 000000002DD8: 24540084
	v_add_u32_e32 v42, s60, v42                                // 000000002DDC: 6854543C
	s_mul_i32 s60, 64, s69                                     // 000000002DE0: 923C45C0
	s_mov_b32 s84, s24                                         // 000000002DE4: BED40018
	s_mov_b32 s85, s25                                         // 000000002DE8: BED50019
	s_mov_b32 s86, s26                                         // 000000002DEC: BED6001A
	s_mov_b32 s87, s27                                         // 000000002DF0: BED7001B
	s_mul_i32 s60, s69, s65                                    // 000000002DF4: 923C4145
	s_add_u32 s84, s60, s84                                    // 000000002DF8: 8054543C
	s_addc_u32 s85, 0, s85                                     // 000000002DFC: 82555580
	v_lshrrev_b32_e32 v4, 4, v0                                // 000000002E00: 20080084
	v_lshlrev_b32_e32 v5, 2, v4                                // 000000002E04: 240A0882
	v_and_b32_e32 v4, 15, v0                                   // 000000002E08: 2608008F
	v_lshrrev_b32_e32 v6, 2, v4                                // 000000002E0C: 200C0882
	v_lshlrev_b32_e32 v6, 6, v6                                // 000000002E10: 240C0C86
	v_add_u32_e32 v5, v6, v5                                   // 000000002E14: 680A0B06
	v_and_b32_e32 v4, 3, v0                                    // 000000002E18: 26080083
	v_add_u32_e32 v5, v4, v5                                   // 000000002E1C: 680A0B04
	v_lshlrev_b32_e32 v22, 2, v5                               // 000000002E20: 242C0A82
	s_mul_i32 s60, s7, 16                                      // 000000002E24: 923C9007
	s_mul_i32 s60, s60, 4                                      // 000000002E28: 923C843C
	v_add_u32_e32 v22, s60, v22                                // 000000002E2C: 682C2C3C
	s_mul_i32 s60, s2, 64                                      // 000000002E30: 923CC002
	s_mul_i32 s60, s60, 4                                      // 000000002E34: 923C843C
	s_mul_i32 s61, s5, s74                                     // 000000002E38: 923D4A05
	s_add_u32 s61, s61, s60                                    // 000000002E3C: 803D3C3D
	s_add_u32 s32, s61, s32                                    // 000000002E40: 8020203D
	s_addc_u32 s33, 0, s33                                     // 000000002E44: 82212180
	s_mov_b32 s57, 0x80                                        // 000000002E48: BEB900FF 00000080
	s_mov_b32 s58, 0x800                                       // 000000002E50: BEBA00FF 00000800
	s_mov_b32 s83, s58                                         // 000000002E58: BED3003A
	s_mov_b32 s52, 0x7060302                                   // 000000002E5C: BEB400FF 07060302
	s_mov_b32 s53, 0x400                                       // 000000002E64: BEB500FF 00000400
	s_mov_b32 s54, 0x40100                                     // 000000002E6C: BEB600FF 00040100
	s_mov_b32 s55, 0x4020100                                   // 000000002E74: BEB700FF 04020100
	s_mov_b32 s6, 0x3fb8aa3b                                   // 000000002E7C: BE8600FF 3FB8AA3B
	s_mov_b32 s78, 0xbd92220c                                  // 000000002E84: BECE00FF BD92220C
	s_mov_b32 s79, 0xbd92220c                                  // 000000002E8C: BECF00FF BD92220C
	s_mov_b32 m0, s48                                          // 000000002E94: BEFC0030
	v_mov_b32_e32 v1, 0xbfcc4231                               // 000000002E98: 7E0202FF BFCC4231
	v_mov_b32_e32 v17, 0xffff0000                              // 000000002EA0: 7E2202FF FFFF0000
	v_mov_b32_e32 v18, 0x7fff0000                              // 000000002EA8: 7E2402FF 7FFF0000
	v_mov_b32_e32 v19, 0x7fff                                  // 000000002EB0: 7E2602FF 00007FFF
	s_waitcnt vmcnt(0) expcnt(0) lgkmcnt(0)                    // 000000002EB8: BF8C0000
	s_mul_i32 s60, s3, 32                                      // 000000002EBC: 923CA003
	s_mul_i32 s60, 4, s60                                      // 000000002EC0: 923C3C84
	s_add_u32 s40, s60, s40                                    // 000000002EC4: 8028283C
	s_addc_u32 s41, 0, s41                                     // 000000002EC8: 82292980
	v_and_b32_e32 v4, 15, v0                                   // 000000002ECC: 2608008F
	v_lshlrev_b32_e32 v4, 2, v4                                // 000000002ED0: 24080882
	buffer_load_dword v60, v4, s[40:43], 0 offen               // 000000002ED4: E0501000 800A3C04
	buffer_load_dword v61, v4, s[40:43], 0 offen offset:64     // 000000002EDC: E0501040 800A3D04
	v_lshrrev_b32_e32 v4, 5, v0                                // 000000002EE4: 20080085
	v_xor_b32_e32 v5, 1, v4                                    // 000000002EE8: 2A0A0881
	v_readlane_b32 s82, v3, 0                                  // 000000002EEC: D2890052 00010103
	s_and_b32 s82, s82, 0xffffff                               // 000000002EF4: 8652FF52 00FFFFFF
	v_mul_lo_u32 v6, v5, s82                                   // 000000002EFC: D2850006 0000A505
	v_readlane_b32 s82, v3, 1                                  // 000000002F04: D2890052 00010303
	s_and_b32 s82, s82, 0xffffff                               // 000000002F0C: 8652FF52 00FFFFFF
	v_mul_lo_u32 v7, v4, s82                                   // 000000002F14: D2850007 0000A504
	v_add_u32_e32 v38, v6, v7                                  // 000000002F1C: 684C0F06
	v_mul_lo_u32 v38, v38, s68                                 // 000000002F20: D2850026 00008926
	v_readlane_b32 s82, v3, 2                                  // 000000002F28: D2890052 00010503
	s_and_b32 s82, s82, 0xffffff                               // 000000002F30: 8652FF52 00FFFFFF
	v_mul_lo_u32 v6, v5, s82                                   // 000000002F38: D2850006 0000A505
	v_readlane_b32 s82, v3, 3                                  // 000000002F40: D2890052 00010703
	s_and_b32 s82, s82, 0xffffff                               // 000000002F48: 8652FF52 00FFFFFF
	v_mul_lo_u32 v7, v4, s82                                   // 000000002F50: D2850007 0000A504
	v_add_u32_e32 v39, v6, v7                                  // 000000002F58: 684E0F06
	v_mul_lo_u32 v39, v39, s68                                 // 000000002F5C: D2850027 00008927
	v_readlane_b32 s82, v3, 4                                  // 000000002F64: D2890052 00010903
	s_and_b32 s82, s82, 0xffffff                               // 000000002F6C: 8652FF52 00FFFFFF
	v_mul_lo_u32 v6, v5, s82                                   // 000000002F74: D2850006 0000A505
	v_readlane_b32 s82, v3, 5                                  // 000000002F7C: D2890052 00010B03
	s_and_b32 s82, s82, 0xffffff                               // 000000002F84: 8652FF52 00FFFFFF
	v_mul_lo_u32 v7, v4, s82                                   // 000000002F8C: D2850007 0000A504
	v_add_u32_e32 v40, v6, v7                                  // 000000002F94: 68500F06
	v_mul_lo_u32 v40, v40, s68                                 // 000000002F98: D2850028 00008928
	v_readlane_b32 s82, v3, 6                                  // 000000002FA0: D2890052 00010D03
	s_and_b32 s82, s82, 0xffffff                               // 000000002FA8: 8652FF52 00FFFFFF
	v_mul_lo_u32 v6, v5, s82                                   // 000000002FB0: D2850006 0000A505
	v_readlane_b32 s82, v3, 7                                  // 000000002FB8: D2890052 00010F03
	s_and_b32 s82, s82, 0xffffff                               // 000000002FC0: 8652FF52 00FFFFFF
	v_mul_lo_u32 v7, v4, s82                                   // 000000002FC8: D2850007 0000A504
	v_add_u32_e32 v41, v6, v7                                  // 000000002FD0: 68520F06
	v_mul_lo_u32 v41, v41, s68                                 // 000000002FD4: D2850029 00008929
	v_and_b32_e32 v4, 31, v0                                   // 000000002FDC: 2608009F
	v_lshlrev_b32_e32 v4, 2, v4                                // 000000002FE0: 24080882
	v_add_u32_e32 v38, v38, v4                                 // 000000002FE4: 684C0926
	v_add_u32_e32 v39, v39, v4                                 // 000000002FE8: 684E0927
	v_add_u32_e32 v40, v40, v4                                 // 000000002FEC: 68500928
	v_add_u32_e32 v41, v41, v4                                 // 000000002FF0: 68520929
	v_and_b32_e32 v30, 0xffffff, v30                           // 000000002FF4: 263C3CFF 00FFFFFF
	v_lshlrev_b32_e32 v30, 2, v30                              // 000000002FFC: 243C3C82
	v_and_b32_e32 v31, 0xffffff, v31                           // 000000003000: 263E3EFF 00FFFFFF
	v_lshlrev_b32_e32 v31, 2, v31                              // 000000003008: 243E3E82
	s_lshl_b32 s3, s66, 2                                      // 00000000300C: 8E038242
	buffer_load_dword v32, v30, s[28:31], 0 offen              // 000000003010: E0501000 8007201E
	buffer_load_dword v33, v31, s[28:31], 0 offen              // 000000003018: E0501000 8007211F
	buffer_load_dword v24, v22, s[32:35], 0 offen              // 000000003020: E0501000 80081816
	s_mul_i32 s60, 4, s65                                      // 000000003028: 923C4184
	s_add_u32 s32, s60, s32                                    // 00000000302C: 8020203C
	s_addc_u32 s33, 0, s33                                     // 000000003030: 82212180
	buffer_load_dword v27, v22, s[32:35], 0 offen              // 000000003034: E0501000 80081B16
	buffer_load_dword v38, s[20:23], 0 offen lds               // 00000000303C: E0511000 80050026
	s_add_u32 m0, 0x100, s48                                   // 000000003044: 807C30FF 00000100
	buffer_load_dword v39, s[20:23], 0 offen lds               // 00000000304C: E0511000 80050027
	s_add_u32 m0, 0x200, s48                                   // 000000003054: 807C30FF 00000200
	buffer_load_dword v40, s[20:23], 0 offen lds               // 00000000305C: E0511000 80050028
	s_add_u32 m0, 0x300, s48                                   // 000000003064: 807C30FF 00000300
	buffer_load_dword v41, s[20:23], 0 offen lds               // 00000000306C: E0511000 80050029
	s_add_u32 m0, 0, s49                                       // 000000003074: 807C3180
	s_add_u32 s20, s57, s20                                    // 000000003078: 80141439
	s_addc_u32 s21, 0, s21                                     // 00000000307C: 82151580
	buffer_load_dwordx4 a[32:35], v42, s[24:27], 0 offen       // 000000003080: E05C1000 8086202A
	buffer_load_dwordx4 a[36:39], v42, s[24:27], 0 offen offset:1024// 000000003088: E05C1400 8086242A
	s_add_u32 s24, s58, s24                                    // 000000003090: 8018183A
	s_addc_u32 s25, 0, s25                                     // 000000003094: 82191980
	buffer_load_dword v38, s[20:23], 0 offen lds               // 000000003098: E0511000 80050026
	s_add_u32 m0, 0x100, s49                                   // 0000000030A0: 807C31FF 00000100
	buffer_load_dword v39, s[20:23], 0 offen lds               // 0000000030A8: E0511000 80050027
	s_add_u32 m0, 0x200, s49                                   // 0000000030B0: 807C31FF 00000200
	buffer_load_dword v40, s[20:23], 0 offen lds               // 0000000030B8: E0511000 80050028
	s_add_u32 m0, 0x300, s49                                   // 0000000030C0: 807C31FF 00000300
	buffer_load_dword v41, s[20:23], 0 offen lds               // 0000000030C8: E0511000 80050029
	s_add_u32 m0, 0, s50                                       // 0000000030D0: 807C3280
	s_add_u32 s20, s57, s20                                    // 0000000030D4: 80141439
	s_addc_u32 s21, 0, s21                                     // 0000000030D8: 82151580
	buffer_load_dwordx4 a[40:43], v42, s[84:87], 0 offen       // 0000000030DC: E05C1000 8095282A
	buffer_load_dwordx4 a[44:47], v42, s[84:87], 0 offen offset:1024// 0000000030E4: E05C1400 80952C2A
	s_add_u32 s84, s83, s84                                    // 0000000030EC: 80545453
	s_addc_u32 s85, 0, s85                                     // 0000000030F0: 82555580
	s_waitcnt vmcnt(8)                                         // 0000000030F4: BF8C0F78
	s_barrier                                                  // 0000000030F8: BF8A0000
	ds_read_b128 a[0:3], v2                                    // 0000000030FC: DBFE0000 00000002
	ds_read_b128 a[4:7], v2 offset:64                          // 000000003104: DBFE0040 04000002
	ds_read_b128 a[8:11], v2 offset:512                        // 00000000310C: DBFE0200 08000002
	ds_read_b128 a[12:15], v2 offset:576                       // 000000003114: DBFE0240 0C000002
	s_cmp_lt_i32 s7, 2                                         // 00000000311C: BF048207
	s_cbranch_scc0 label_0776                                  // 000000003120: BF8405AA

0000000000003124 <label_01C9>:
	s_waitcnt vmcnt(6) lgkmcnt(0)                              // 000000003124: BF8C0076
	v_mfma_f32_16x16x32_fp8_fp8 v[44:47], a[32:33], a[0:1], v[44:47]// 000000003128: D3F3002C 1CB20120
	v_mfma_f32_16x16x32_fp8_fp8 v[44:47], a[34:35], a[2:3], v[44:47]// 000000003130: D3F3002C 1CB20522
	buffer_load_dwordx4 a[48:51], v42, s[24:27], 0 offen       // 000000003138: E05C1000 8086302A
	v_mfma_f32_16x16x32_fp8_fp8 v[44:47], a[36:37], a[4:5], v[44:47]// 000000003140: D3F3002C 1CB20924
	v_mfma_f32_16x16x32_fp8_fp8 v[44:47], a[38:39], a[6:7], v[44:47]// 000000003148: D3F3002C 1CB20D26
	v_mfma_f32_16x16x32_fp8_fp8 v[48:51], a[32:33], a[8:9], v[48:51]// 000000003150: D3F30030 1CC21120
	v_mfma_f32_16x16x32_fp8_fp8 v[48:51], a[34:35], a[10:11], v[48:51]// 000000003158: D3F30030 1CC21522
	buffer_load_dwordx4 a[52:55], v42, s[24:27], 0 offen offset:1024// 000000003160: E05C1400 8086342A
	buffer_load_dword v38, s[20:23], 0 offen lds               // 000000003168: E0511000 80050026
	s_add_u32 m0, 0x100, s50                                   // 000000003170: 807C32FF 00000100
	v_mfma_f32_16x16x32_fp8_fp8 v[48:51], a[36:37], a[12:13], v[48:51]// 000000003178: D3F30030 1CC21924
	v_mfma_f32_16x16x32_fp8_fp8 v[48:51], a[38:39], a[14:15], v[48:51]// 000000003180: D3F30030 1CC21D26
	buffer_load_dword v39, s[20:23], 0 offen lds               // 000000003188: E0511000 80050027
	s_add_u32 m0, 0x200, s50                                   // 000000003190: 807C32FF 00000200
	buffer_load_dword v40, s[20:23], 0 offen lds               // 000000003198: E0511000 80050028
	s_add_u32 m0, 0x300, s50                                   // 0000000031A0: 807C32FF 00000300
	buffer_load_dword v41, s[20:23], 0 offen lds               // 0000000031A8: E0511000 80050029
	s_add_u32 m0, 0, s48                                       // 0000000031B0: 807C3080
	s_waitcnt vmcnt(6)                                         // 0000000031B4: BF8C0F76
	s_barrier                                                  // 0000000031B8: BF8A0000
	v_mfma_f32_16x16x32_fp8_fp8 v[52:55], a[40:41], a[0:1], v[52:55]// 0000000031BC: D3F30034 1CD20128
	s_add_u32 s60, 0x180, s80                                  // 0000000031C4: 803C50FF 00000180
	s_cmp_lt_u32 s60, s81                                      // 0000000031CC: BF0A513C
	s_cselect_b32 s57, s57, 0                                  // 0000000031D0: 85398039
	v_mfma_f32_16x16x32_fp8_fp8 v[52:55], a[42:43], a[2:3], v[52:55]// 0000000031D4: D3F30034 1CD2052A
	buffer_load_dwordx4 a[32:35], v42, s[84:87], 0 offen       // 0000000031DC: E05C1000 8095202A
	s_add_u32 s60, 0x100, s80                                  // 0000000031E4: 803C50FF 00000100
	s_cmp_lt_u32 s60, s81                                      // 0000000031EC: BF0A513C
	s_cselect_b32 s58, s58, 0                                  // 0000000031F0: 853A803A
	v_mfma_f32_16x16x32_fp8_fp8 v[52:55], a[44:45], a[4:5], v[52:55]// 0000000031F4: D3F30034 1CD2092C
	s_add_u32 s60, 0x100, s80                                  // 0000000031FC: 803C50FF 00000100
	s_cmp_lt_u32 s60, s81                                      // 000000003204: BF0A513C
	s_cselect_b32 s83, s83, 0                                  // 000000003208: 85538053
	v_mfma_f32_16x16x32_fp8_fp8 v[52:55], a[46:47], a[6:7], v[52:55]// 00000000320C: D3F30034 1CD20D2E
	ds_read_b128 a[16:19], v2 offset:4224                      // 000000003214: DBFE1080 10000002
	ds_read_b128 a[20:23], v2 offset:4288                      // 00000000321C: DBFE10C0 14000002
	s_add_u32 s24, s58, s24                                    // 000000003224: 8018183A
	s_addc_u32 s25, 0, s25                                     // 000000003228: 82191980
	v_mfma_f32_16x16x32_fp8_fp8 v[56:59], a[40:41], a[8:9], v[56:59]// 00000000322C: D3F30038 1CE21128
	s_add_u32 s20, s57, s20                                    // 000000003234: 80141439
	s_addc_u32 s21, 0, s21                                     // 000000003238: 82151580
	v_mfma_f32_16x16x32_fp8_fp8 v[56:59], a[42:43], a[10:11], v[56:59]// 00000000323C: D3F30038 1CE2152A
	buffer_load_dwordx4 a[36:39], v42, s[84:87], 0 offen offset:1024// 000000003244: E05C1400 8095242A
	s_add_u32 s84, s83, s84                                    // 00000000324C: 80545453
	s_addc_u32 s85, 0, s85                                     // 000000003250: 82555580
	v_mfma_f32_16x16x32_fp8_fp8 v[56:59], a[44:45], a[12:13], v[56:59]// 000000003254: D3F30038 1CE2192C
	v_mfma_f32_16x16x32_fp8_fp8 v[56:59], a[46:47], a[14:15], v[56:59]// 00000000325C: D3F30038 1CE21D2E
	ds_read_b128 a[24:27], v2 offset:4736                      // 000000003264: DBFE1280 18000002
	ds_read_b128 a[28:31], v2 offset:4800                      // 00000000326C: DBFE12C0 1C000002
	s_addk_i32 s80, 0x80                                       // 000000003274: B7500080
	s_cmp_lt_i32 s80, s81                                      // 000000003278: BF045150
	s_cbranch_scc0 label_03D4                                  // 00000000327C: BF8401B4
	s_waitcnt vmcnt(6) lgkmcnt(0)                              // 000000003280: BF8C0076
	v_mfma_f32_16x16x32_fp8_fp8 v[44:47], a[48:49], a[16:17], v[44:47]// 000000003284: D3F3002C 1CB22130
	v_mfma_f32_16x16x32_fp8_fp8 v[44:47], a[50:51], a[18:19], v[44:47]// 00000000328C: D3F3002C 1CB22532
	buffer_load_dwordx4 a[40:43], v42, s[24:27], 0 offen       // 000000003294: E05C1000 8086282A
	v_mfma_f32_16x16x32_fp8_fp8 v[44:47], a[52:53], a[20:21], v[44:47]// 00000000329C: D3F3002C 1CB22934
	v_mfma_f32_16x16x32_fp8_fp8 v[44:47], a[54:55], a[22:23], v[44:47]// 0000000032A4: D3F3002C 1CB22D36
	v_mfma_f32_16x16x32_fp8_fp8 v[48:51], a[48:49], a[24:25], v[48:51]// 0000000032AC: D3F30030 1CC23130
	v_mfma_f32_16x16x32_fp8_fp8 v[48:51], a[50:51], a[26:27], v[48:51]// 0000000032B4: D3F30030 1CC23532
	buffer_load_dwordx4 a[44:47], v42, s[24:27], 0 offen offset:1024// 0000000032BC: E05C1400 80862C2A
	buffer_load_dword v38, s[20:23], 0 offen lds               // 0000000032C4: E0511000 80050026
	s_add_u32 m0, 0x100, s48                                   // 0000000032CC: 807C30FF 00000100
	v_mfma_f32_16x16x32_fp8_fp8 v[48:51], a[52:53], a[28:29], v[48:51]// 0000000032D4: D3F30030 1CC23934
	v_mfma_f32_16x16x32_fp8_fp8 v[48:51], a[54:55], a[30:31], v[48:51]// 0000000032DC: D3F30030 1CC23D36
	buffer_load_dword v39, s[20:23], 0 offen lds               // 0000000032E4: E0511000 80050027
	s_add_u32 m0, 0x200, s48                                   // 0000000032EC: 807C30FF 00000200
	buffer_load_dword v40, s[20:23], 0 offen lds               // 0000000032F4: E0511000 80050028
	s_add_u32 m0, 0x300, s48                                   // 0000000032FC: 807C30FF 00000300
	buffer_load_dword v41, s[20:23], 0 offen lds               // 000000003304: E0511000 80050029
	s_add_u32 m0, 0, s49                                       // 00000000330C: 807C3180
	s_waitcnt vmcnt(6)                                         // 000000003310: BF8C0F76
	s_barrier                                                  // 000000003314: BF8A0000
	v_mfma_f32_16x16x32_fp8_fp8 v[52:55], a[32:33], a[16:17], v[52:55]// 000000003318: D3F30034 1CD22120
	s_add_u32 s60, 0x180, s80                                  // 000000003320: 803C50FF 00000180
	s_cmp_lt_u32 s60, s81                                      // 000000003328: BF0A513C
	s_cselect_b32 s57, s57, 0                                  // 00000000332C: 85398039
	v_mfma_f32_16x16x32_fp8_fp8 v[52:55], a[34:35], a[18:19], v[52:55]// 000000003330: D3F30034 1CD22522
	buffer_load_dwordx4 a[48:51], v42, s[84:87], 0 offen       // 000000003338: E05C1000 8095302A
	s_add_u32 s60, 0x100, s80                                  // 000000003340: 803C50FF 00000100
	s_cmp_lt_u32 s60, s81                                      // 000000003348: BF0A513C
	s_cselect_b32 s58, s58, 0                                  // 00000000334C: 853A803A
	v_mfma_f32_16x16x32_fp8_fp8 v[52:55], a[36:37], a[20:21], v[52:55]// 000000003350: D3F30034 1CD22924
	s_add_u32 s60, 0x100, s80                                  // 000000003358: 803C50FF 00000100
	s_cmp_lt_u32 s60, s81                                      // 000000003360: BF0A513C
	s_cselect_b32 s83, s83, 0                                  // 000000003364: 85538053
	v_mfma_f32_16x16x32_fp8_fp8 v[52:55], a[38:39], a[22:23], v[52:55]// 000000003368: D3F30034 1CD22D26
	ds_read_b128 a[0:3], v2 offset:8448                        // 000000003370: DBFE2100 00000002
	ds_read_b128 a[4:7], v2 offset:8512                        // 000000003378: DBFE2140 04000002
	s_add_u32 s24, s58, s24                                    // 000000003380: 8018183A
	s_addc_u32 s25, 0, s25                                     // 000000003384: 82191980
	v_mfma_f32_16x16x32_fp8_fp8 v[56:59], a[32:33], a[24:25], v[56:59]// 000000003388: D3F30038 1CE23120
	s_add_u32 s20, s57, s20                                    // 000000003390: 80141439
	s_addc_u32 s21, 0, s21                                     // 000000003394: 82151580
	v_mfma_f32_16x16x32_fp8_fp8 v[56:59], a[34:35], a[26:27], v[56:59]// 000000003398: D3F30038 1CE23522
	buffer_load_dwordx4 a[52:55], v42, s[84:87], 0 offen offset:1024// 0000000033A0: E05C1400 8095342A
	s_add_u32 s84, s83, s84                                    // 0000000033A8: 80545453
	s_addc_u32 s85, 0, s85                                     // 0000000033AC: 82555580
	v_mfma_f32_16x16x32_fp8_fp8 v[56:59], a[36:37], a[28:29], v[56:59]// 0000000033B0: D3F30038 1CE23924
	v_mfma_f32_16x16x32_fp8_fp8 v[56:59], a[38:39], a[30:31], v[56:59]// 0000000033B8: D3F30038 1CE23D26
	ds_read_b128 a[8:11], v2 offset:8960                       // 0000000033C0: DBFE2300 08000002
	ds_read_b128 a[12:15], v2 offset:9024                      // 0000000033C8: DBFE2340 0C000002
	s_addk_i32 s80, 0x80                                       // 0000000033D0: B7500080
	s_cmp_lt_i32 s80, s81                                      // 0000000033D4: BF045150
	s_cbranch_scc0 label_03D4                                  // 0000000033D8: BF84015D
	s_waitcnt vmcnt(6) lgkmcnt(0)                              // 0000000033DC: BF8C0076
	v_mfma_f32_16x16x32_fp8_fp8 v[44:47], a[40:41], a[0:1], v[44:47]// 0000000033E0: D3F3002C 1CB20128
	v_mfma_f32_16x16x32_fp8_fp8 v[44:47], a[42:43], a[2:3], v[44:47]// 0000000033E8: D3F3002C 1CB2052A
	buffer_load_dwordx4 a[32:35], v42, s[24:27], 0 offen       // 0000000033F0: E05C1000 8086202A
	v_mfma_f32_16x16x32_fp8_fp8 v[44:47], a[44:45], a[4:5], v[44:47]// 0000000033F8: D3F3002C 1CB2092C
	v_mfma_f32_16x16x32_fp8_fp8 v[44:47], a[46:47], a[6:7], v[44:47]// 000000003400: D3F3002C 1CB20D2E
	v_mfma_f32_16x16x32_fp8_fp8 v[48:51], a[40:41], a[8:9], v[48:51]// 000000003408: D3F30030 1CC21128
	v_mfma_f32_16x16x32_fp8_fp8 v[48:51], a[42:43], a[10:11], v[48:51]// 000000003410: D3F30030 1CC2152A
	buffer_load_dwordx4 a[36:39], v42, s[24:27], 0 offen offset:1024// 000000003418: E05C1400 8086242A
	buffer_load_dword v38, s[20:23], 0 offen lds               // 000000003420: E0511000 80050026
	s_add_u32 m0, 0x100, s49                                   // 000000003428: 807C31FF 00000100
	v_mfma_f32_16x16x32_fp8_fp8 v[48:51], a[44:45], a[12:13], v[48:51]// 000000003430: D3F30030 1CC2192C
	v_mfma_f32_16x16x32_fp8_fp8 v[48:51], a[46:47], a[14:15], v[48:51]// 000000003438: D3F30030 1CC21D2E
	buffer_load_dword v39, s[20:23], 0 offen lds               // 000000003440: E0511000 80050027
	s_add_u32 m0, 0x200, s49                                   // 000000003448: 807C31FF 00000200
	buffer_load_dword v40, s[20:23], 0 offen lds               // 000000003450: E0511000 80050028
	s_add_u32 m0, 0x300, s49                                   // 000000003458: 807C31FF 00000300
	buffer_load_dword v41, s[20:23], 0 offen lds               // 000000003460: E0511000 80050029
	s_add_u32 m0, 0, s50                                       // 000000003468: 807C3280
	s_waitcnt vmcnt(6)                                         // 00000000346C: BF8C0F76
	s_barrier                                                  // 000000003470: BF8A0000
	v_mfma_f32_16x16x32_fp8_fp8 v[52:55], a[48:49], a[0:1], v[52:55]// 000000003474: D3F30034 1CD20130
	s_add_u32 s60, 0x180, s80                                  // 00000000347C: 803C50FF 00000180
	s_cmp_lt_u32 s60, s81                                      // 000000003484: BF0A513C
	s_cselect_b32 s57, s57, 0                                  // 000000003488: 85398039
	v_mfma_f32_16x16x32_fp8_fp8 v[52:55], a[50:51], a[2:3], v[52:55]// 00000000348C: D3F30034 1CD20532
	buffer_load_dwordx4 a[40:43], v42, s[84:87], 0 offen       // 000000003494: E05C1000 8095282A
	s_add_u32 s60, 0x100, s80                                  // 00000000349C: 803C50FF 00000100
	s_cmp_lt_u32 s60, s81                                      // 0000000034A4: BF0A513C
	s_cselect_b32 s58, s58, 0                                  // 0000000034A8: 853A803A
	v_mfma_f32_16x16x32_fp8_fp8 v[52:55], a[52:53], a[4:5], v[52:55]// 0000000034AC: D3F30034 1CD20934
	s_add_u32 s60, 0x100, s80                                  // 0000000034B4: 803C50FF 00000100
	s_cmp_lt_u32 s60, s81                                      // 0000000034BC: BF0A513C
	s_cselect_b32 s83, s83, 0                                  // 0000000034C0: 85538053
	v_mfma_f32_16x16x32_fp8_fp8 v[52:55], a[54:55], a[6:7], v[52:55]// 0000000034C4: D3F30034 1CD20D36
	ds_read_b128 a[16:19], v2                                  // 0000000034CC: DBFE0000 10000002
	ds_read_b128 a[20:23], v2 offset:64                        // 0000000034D4: DBFE0040 14000002
	s_add_u32 s24, s58, s24                                    // 0000000034DC: 8018183A
	s_addc_u32 s25, 0, s25                                     // 0000000034E0: 82191980
	v_mfma_f32_16x16x32_fp8_fp8 v[56:59], a[48:49], a[8:9], v[56:59]// 0000000034E4: D3F30038 1CE21130
	s_add_u32 s20, s57, s20                                    // 0000000034EC: 80141439
	s_addc_u32 s21, 0, s21                                     // 0000000034F0: 82151580
	v_mfma_f32_16x16x32_fp8_fp8 v[56:59], a[50:51], a[10:11], v[56:59]// 0000000034F4: D3F30038 1CE21532
	buffer_load_dwordx4 a[44:47], v42, s[84:87], 0 offen offset:1024// 0000000034FC: E05C1400 80952C2A
	s_add_u32 s84, s83, s84                                    // 000000003504: 80545453
	s_addc_u32 s85, 0, s85                                     // 000000003508: 82555580
	v_mfma_f32_16x16x32_fp8_fp8 v[56:59], a[52:53], a[12:13], v[56:59]// 00000000350C: D3F30038 1CE21934
	v_mfma_f32_16x16x32_fp8_fp8 v[56:59], a[54:55], a[14:15], v[56:59]// 000000003514: D3F30038 1CE21D36
	ds_read_b128 a[24:27], v2 offset:512                       // 00000000351C: DBFE0200 18000002
	ds_read_b128 a[28:31], v2 offset:576                       // 000000003524: DBFE0240 1C000002
	s_addk_i32 s80, 0x80                                       // 00000000352C: B7500080
	s_cmp_lt_i32 s80, s81                                      // 000000003530: BF045150
	s_cbranch_scc0 label_03D4                                  // 000000003534: BF840106
	s_waitcnt vmcnt(6) lgkmcnt(0)                              // 000000003538: BF8C0076
	v_mfma_f32_16x16x32_fp8_fp8 v[44:47], a[32:33], a[16:17], v[44:47]// 00000000353C: D3F3002C 1CB22120
	v_mfma_f32_16x16x32_fp8_fp8 v[44:47], a[34:35], a[18:19], v[44:47]// 000000003544: D3F3002C 1CB22522
	buffer_load_dwordx4 a[48:51], v42, s[24:27], 0 offen       // 00000000354C: E05C1000 8086302A
	v_mfma_f32_16x16x32_fp8_fp8 v[44:47], a[36:37], a[20:21], v[44:47]// 000000003554: D3F3002C 1CB22924
	v_mfma_f32_16x16x32_fp8_fp8 v[44:47], a[38:39], a[22:23], v[44:47]// 00000000355C: D3F3002C 1CB22D26
	v_mfma_f32_16x16x32_fp8_fp8 v[48:51], a[32:33], a[24:25], v[48:51]// 000000003564: D3F30030 1CC23120
	v_mfma_f32_16x16x32_fp8_fp8 v[48:51], a[34:35], a[26:27], v[48:51]// 00000000356C: D3F30030 1CC23522
	buffer_load_dwordx4 a[52:55], v42, s[24:27], 0 offen offset:1024// 000000003574: E05C1400 8086342A
	buffer_load_dword v38, s[20:23], 0 offen lds               // 00000000357C: E0511000 80050026
	s_add_u32 m0, 0x100, s50                                   // 000000003584: 807C32FF 00000100
	v_mfma_f32_16x16x32_fp8_fp8 v[48:51], a[36:37], a[28:29], v[48:51]// 00000000358C: D3F30030 1CC23924
	v_mfma_f32_16x16x32_fp8_fp8 v[48:51], a[38:39], a[30:31], v[48:51]// 000000003594: D3F30030 1CC23D26
	buffer_load_dword v39, s[20:23], 0 offen lds               // 00000000359C: E0511000 80050027
	s_add_u32 m0, 0x200, s50                                   // 0000000035A4: 807C32FF 00000200
	buffer_load_dword v40, s[20:23], 0 offen lds               // 0000000035AC: E0511000 80050028
	s_add_u32 m0, 0x300, s50                                   // 0000000035B4: 807C32FF 00000300
	buffer_load_dword v41, s[20:23], 0 offen lds               // 0000000035BC: E0511000 80050029
	s_add_u32 m0, 0, s48                                       // 0000000035C4: 807C3080
	s_waitcnt vmcnt(6)                                         // 0000000035C8: BF8C0F76
	s_barrier                                                  // 0000000035CC: BF8A0000
	v_mfma_f32_16x16x32_fp8_fp8 v[52:55], a[40:41], a[16:17], v[52:55]// 0000000035D0: D3F30034 1CD22128
	s_add_u32 s60, 0x180, s80                                  // 0000000035D8: 803C50FF 00000180
	s_cmp_lt_u32 s60, s81                                      // 0000000035E0: BF0A513C
	s_cselect_b32 s57, s57, 0                                  // 0000000035E4: 85398039
	v_mfma_f32_16x16x32_fp8_fp8 v[52:55], a[42:43], a[18:19], v[52:55]// 0000000035E8: D3F30034 1CD2252A
	buffer_load_dwordx4 a[32:35], v42, s[84:87], 0 offen       // 0000000035F0: E05C1000 8095202A
	s_add_u32 s60, 0x100, s80                                  // 0000000035F8: 803C50FF 00000100
	s_cmp_lt_u32 s60, s81                                      // 000000003600: BF0A513C
	s_cselect_b32 s58, s58, 0                                  // 000000003604: 853A803A
	v_mfma_f32_16x16x32_fp8_fp8 v[52:55], a[44:45], a[20:21], v[52:55]// 000000003608: D3F30034 1CD2292C
	s_add_u32 s60, 0x100, s80                                  // 000000003610: 803C50FF 00000100
	s_cmp_lt_u32 s60, s81                                      // 000000003618: BF0A513C
	s_cselect_b32 s83, s83, 0                                  // 00000000361C: 85538053
	v_mfma_f32_16x16x32_fp8_fp8 v[52:55], a[46:47], a[22:23], v[52:55]// 000000003620: D3F30034 1CD22D2E
	ds_read_b128 a[0:3], v2 offset:4224                        // 000000003628: DBFE1080 00000002
	ds_read_b128 a[4:7], v2 offset:4288                        // 000000003630: DBFE10C0 04000002
	s_add_u32 s24, s58, s24                                    // 000000003638: 8018183A
	s_addc_u32 s25, 0, s25                                     // 00000000363C: 82191980
	v_mfma_f32_16x16x32_fp8_fp8 v[56:59], a[40:41], a[24:25], v[56:59]// 000000003640: D3F30038 1CE23128
	s_add_u32 s20, s57, s20                                    // 000000003648: 80141439
	s_addc_u32 s21, 0, s21                                     // 00000000364C: 82151580
	v_mfma_f32_16x16x32_fp8_fp8 v[56:59], a[42:43], a[26:27], v[56:59]// 000000003650: D3F30038 1CE2352A
	buffer_load_dwordx4 a[36:39], v42, s[84:87], 0 offen offset:1024// 000000003658: E05C1400 8095242A
	s_add_u32 s84, s83, s84                                    // 000000003660: 80545453
	s_addc_u32 s85, 0, s85                                     // 000000003664: 82555580
	v_mfma_f32_16x16x32_fp8_fp8 v[56:59], a[44:45], a[28:29], v[56:59]// 000000003668: D3F30038 1CE2392C
	v_mfma_f32_16x16x32_fp8_fp8 v[56:59], a[46:47], a[30:31], v[56:59]// 000000003670: D3F30038 1CE23D2E
	ds_read_b128 a[8:11], v2 offset:4736                       // 000000003678: DBFE1280 08000002
	ds_read_b128 a[12:15], v2 offset:4800                      // 000000003680: DBFE12C0 0C000002
	s_addk_i32 s80, 0x80                                       // 000000003688: B7500080
	s_cmp_lt_i32 s80, s81                                      // 00000000368C: BF045150
	s_cbranch_scc0 label_03D4                                  // 000000003690: BF8400AF
	s_waitcnt vmcnt(6) lgkmcnt(0)                              // 000000003694: BF8C0076
	v_mfma_f32_16x16x32_fp8_fp8 v[44:47], a[48:49], a[0:1], v[44:47]// 000000003698: D3F3002C 1CB20130
	v_mfma_f32_16x16x32_fp8_fp8 v[44:47], a[50:51], a[2:3], v[44:47]// 0000000036A0: D3F3002C 1CB20532
	buffer_load_dwordx4 a[40:43], v42, s[24:27], 0 offen       // 0000000036A8: E05C1000 8086282A
	v_mfma_f32_16x16x32_fp8_fp8 v[44:47], a[52:53], a[4:5], v[44:47]// 0000000036B0: D3F3002C 1CB20934
	v_mfma_f32_16x16x32_fp8_fp8 v[44:47], a[54:55], a[6:7], v[44:47]// 0000000036B8: D3F3002C 1CB20D36
	v_mfma_f32_16x16x32_fp8_fp8 v[48:51], a[48:49], a[8:9], v[48:51]// 0000000036C0: D3F30030 1CC21130
	v_mfma_f32_16x16x32_fp8_fp8 v[48:51], a[50:51], a[10:11], v[48:51]// 0000000036C8: D3F30030 1CC21532
	buffer_load_dwordx4 a[44:47], v42, s[24:27], 0 offen offset:1024// 0000000036D0: E05C1400 80862C2A
	buffer_load_dword v38, s[20:23], 0 offen lds               // 0000000036D8: E0511000 80050026
	s_add_u32 m0, 0x100, s48                                   // 0000000036E0: 807C30FF 00000100
	v_mfma_f32_16x16x32_fp8_fp8 v[48:51], a[52:53], a[12:13], v[48:51]// 0000000036E8: D3F30030 1CC21934
	v_mfma_f32_16x16x32_fp8_fp8 v[48:51], a[54:55], a[14:15], v[48:51]// 0000000036F0: D3F30030 1CC21D36
	buffer_load_dword v39, s[20:23], 0 offen lds               // 0000000036F8: E0511000 80050027
	s_add_u32 m0, 0x200, s48                                   // 000000003700: 807C30FF 00000200
	buffer_load_dword v40, s[20:23], 0 offen lds               // 000000003708: E0511000 80050028
	s_add_u32 m0, 0x300, s48                                   // 000000003710: 807C30FF 00000300
	buffer_load_dword v41, s[20:23], 0 offen lds               // 000000003718: E0511000 80050029
	s_add_u32 m0, 0, s49                                       // 000000003720: 807C3180
	s_waitcnt vmcnt(6)                                         // 000000003724: BF8C0F76
	s_barrier                                                  // 000000003728: BF8A0000
	v_mfma_f32_16x16x32_fp8_fp8 v[52:55], a[32:33], a[0:1], v[52:55]// 00000000372C: D3F30034 1CD20120
	s_add_u32 s60, 0x180, s80                                  // 000000003734: 803C50FF 00000180
	s_cmp_lt_u32 s60, s81                                      // 00000000373C: BF0A513C
	s_cselect_b32 s57, s57, 0                                  // 000000003740: 85398039
	v_mfma_f32_16x16x32_fp8_fp8 v[52:55], a[34:35], a[2:3], v[52:55]// 000000003744: D3F30034 1CD20522
	buffer_load_dwordx4 a[48:51], v42, s[84:87], 0 offen       // 00000000374C: E05C1000 8095302A
	s_add_u32 s60, 0x100, s80                                  // 000000003754: 803C50FF 00000100
	s_cmp_lt_u32 s60, s81                                      // 00000000375C: BF0A513C
	s_cselect_b32 s58, s58, 0                                  // 000000003760: 853A803A
	v_mfma_f32_16x16x32_fp8_fp8 v[52:55], a[36:37], a[4:5], v[52:55]// 000000003764: D3F30034 1CD20924
	s_add_u32 s60, 0x100, s80                                  // 00000000376C: 803C50FF 00000100
	s_cmp_lt_u32 s60, s81                                      // 000000003774: BF0A513C
	s_cselect_b32 s83, s83, 0                                  // 000000003778: 85538053
	v_mfma_f32_16x16x32_fp8_fp8 v[52:55], a[38:39], a[6:7], v[52:55]// 00000000377C: D3F30034 1CD20D26
	ds_read_b128 a[16:19], v2 offset:8448                      // 000000003784: DBFE2100 10000002
	ds_read_b128 a[20:23], v2 offset:8512                      // 00000000378C: DBFE2140 14000002
	s_add_u32 s24, s58, s24                                    // 000000003794: 8018183A
	s_addc_u32 s25, 0, s25                                     // 000000003798: 82191980
	v_mfma_f32_16x16x32_fp8_fp8 v[56:59], a[32:33], a[8:9], v[56:59]// 00000000379C: D3F30038 1CE21120
	s_add_u32 s20, s57, s20                                    // 0000000037A4: 80141439
	s_addc_u32 s21, 0, s21                                     // 0000000037A8: 82151580
	v_mfma_f32_16x16x32_fp8_fp8 v[56:59], a[34:35], a[10:11], v[56:59]// 0000000037AC: D3F30038 1CE21522
	buffer_load_dwordx4 a[52:55], v42, s[84:87], 0 offen offset:1024// 0000000037B4: E05C1400 8095342A
	s_add_u32 s84, s83, s84                                    // 0000000037BC: 80545453
	s_addc_u32 s85, 0, s85                                     // 0000000037C0: 82555580
	v_mfma_f32_16x16x32_fp8_fp8 v[56:59], a[36:37], a[12:13], v[56:59]// 0000000037C4: D3F30038 1CE21924
	v_mfma_f32_16x16x32_fp8_fp8 v[56:59], a[38:39], a[14:15], v[56:59]// 0000000037CC: D3F30038 1CE21D26
	ds_read_b128 a[24:27], v2 offset:8960                      // 0000000037D4: DBFE2300 18000002
	ds_read_b128 a[28:31], v2 offset:9024                      // 0000000037DC: DBFE2340 1C000002
	s_addk_i32 s80, 0x80                                       // 0000000037E4: B7500080
	s_cmp_lt_i32 s80, s81                                      // 0000000037E8: BF045150
	s_cbranch_scc0 label_03D4                                  // 0000000037EC: BF840058
	s_waitcnt vmcnt(6) lgkmcnt(0)                              // 0000000037F0: BF8C0076
	v_mfma_f32_16x16x32_fp8_fp8 v[44:47], a[40:41], a[16:17], v[44:47]// 0000000037F4: D3F3002C 1CB22128
	v_mfma_f32_16x16x32_fp8_fp8 v[44:47], a[42:43], a[18:19], v[44:47]// 0000000037FC: D3F3002C 1CB2252A
	buffer_load_dwordx4 a[32:35], v42, s[24:27], 0 offen       // 000000003804: E05C1000 8086202A
	v_mfma_f32_16x16x32_fp8_fp8 v[44:47], a[44:45], a[20:21], v[44:47]// 00000000380C: D3F3002C 1CB2292C
	v_mfma_f32_16x16x32_fp8_fp8 v[44:47], a[46:47], a[22:23], v[44:47]// 000000003814: D3F3002C 1CB22D2E
	v_mfma_f32_16x16x32_fp8_fp8 v[48:51], a[40:41], a[24:25], v[48:51]// 00000000381C: D3F30030 1CC23128
	v_mfma_f32_16x16x32_fp8_fp8 v[48:51], a[42:43], a[26:27], v[48:51]// 000000003824: D3F30030 1CC2352A
	buffer_load_dwordx4 a[36:39], v42, s[24:27], 0 offen offset:1024// 00000000382C: E05C1400 8086242A
	buffer_load_dword v38, s[20:23], 0 offen lds               // 000000003834: E0511000 80050026
	s_add_u32 m0, 0x100, s49                                   // 00000000383C: 807C31FF 00000100
	v_mfma_f32_16x16x32_fp8_fp8 v[48:51], a[44:45], a[28:29], v[48:51]// 000000003844: D3F30030 1CC2392C
	v_mfma_f32_16x16x32_fp8_fp8 v[48:51], a[46:47], a[30:31], v[48:51]// 00000000384C: D3F30030 1CC23D2E
	buffer_load_dword v39, s[20:23], 0 offen lds               // 000000003854: E0511000 80050027
	s_add_u32 m0, 0x200, s49                                   // 00000000385C: 807C31FF 00000200
	buffer_load_dword v40, s[20:23], 0 offen lds               // 000000003864: E0511000 80050028
	s_add_u32 m0, 0x300, s49                                   // 00000000386C: 807C31FF 00000300
	buffer_load_dword v41, s[20:23], 0 offen lds               // 000000003874: E0511000 80050029
	s_add_u32 m0, 0, s50                                       // 00000000387C: 807C3280
	s_waitcnt vmcnt(6)                                         // 000000003880: BF8C0F76
	s_barrier                                                  // 000000003884: BF8A0000
	v_mfma_f32_16x16x32_fp8_fp8 v[52:55], a[48:49], a[16:17], v[52:55]// 000000003888: D3F30034 1CD22130
	s_add_u32 s60, 0x180, s80                                  // 000000003890: 803C50FF 00000180
	s_cmp_lt_u32 s60, s81                                      // 000000003898: BF0A513C
	s_cselect_b32 s57, s57, 0                                  // 00000000389C: 85398039
	v_mfma_f32_16x16x32_fp8_fp8 v[52:55], a[50:51], a[18:19], v[52:55]// 0000000038A0: D3F30034 1CD22532
	buffer_load_dwordx4 a[40:43], v42, s[84:87], 0 offen       // 0000000038A8: E05C1000 8095282A
	s_add_u32 s60, 0x100, s80                                  // 0000000038B0: 803C50FF 00000100
	s_cmp_lt_u32 s60, s81                                      // 0000000038B8: BF0A513C
	s_cselect_b32 s58, s58, 0                                  // 0000000038BC: 853A803A
	v_mfma_f32_16x16x32_fp8_fp8 v[52:55], a[52:53], a[20:21], v[52:55]// 0000000038C0: D3F30034 1CD22934
	s_add_u32 s60, 0x100, s80                                  // 0000000038C8: 803C50FF 00000100
	s_cmp_lt_u32 s60, s81                                      // 0000000038D0: BF0A513C
	s_cselect_b32 s83, s83, 0                                  // 0000000038D4: 85538053
	v_mfma_f32_16x16x32_fp8_fp8 v[52:55], a[54:55], a[22:23], v[52:55]// 0000000038D8: D3F30034 1CD22D36
	ds_read_b128 a[0:3], v2                                    // 0000000038E0: DBFE0000 00000002
	ds_read_b128 a[4:7], v2 offset:64                          // 0000000038E8: DBFE0040 04000002
	s_add_u32 s24, s58, s24                                    // 0000000038F0: 8018183A
	s_addc_u32 s25, 0, s25                                     // 0000000038F4: 82191980
	v_mfma_f32_16x16x32_fp8_fp8 v[56:59], a[48:49], a[24:25], v[56:59]// 0000000038F8: D3F30038 1CE23130
	s_add_u32 s20, s57, s20                                    // 000000003900: 80141439
	s_addc_u32 s21, 0, s21                                     // 000000003904: 82151580
	v_mfma_f32_16x16x32_fp8_fp8 v[56:59], a[50:51], a[26:27], v[56:59]// 000000003908: D3F30038 1CE23532
	buffer_load_dwordx4 a[44:47], v42, s[84:87], 0 offen offset:1024// 000000003910: E05C1400 80952C2A
	s_add_u32 s84, s83, s84                                    // 000000003918: 80545453
	s_addc_u32 s85, 0, s85                                     // 00000000391C: 82555580
	v_mfma_f32_16x16x32_fp8_fp8 v[56:59], a[52:53], a[28:29], v[56:59]// 000000003920: D3F30038 1CE23934
	v_mfma_f32_16x16x32_fp8_fp8 v[56:59], a[54:55], a[30:31], v[56:59]// 000000003928: D3F30038 1CE23D36
	ds_read_b128 a[8:11], v2 offset:512                        // 000000003930: DBFE0200 08000002
	ds_read_b128 a[12:15], v2 offset:576                       // 000000003938: DBFE0240 0C000002
	s_addk_i32 s80, 0x80                                       // 000000003940: B7500080
	s_cmp_lt_i32 s80, s81                                      // 000000003944: BF045150
	s_cbranch_scc0 label_03D4                                  // 000000003948: BF840001
	s_branch label_01C9                                        // 00000000394C: BF82FDF5

0000000000003950 <label_03D4>:
	v_mul_f32_dpp v44, v24, v44 row_newbcast:0 row_mask:0xf bank_mask:0xf// 000000003950: 0A5858FA FF015018
	v_mul_f32_dpp v45, v24, v45 row_newbcast:1 row_mask:0xf bank_mask:0xf// 000000003958: 0A5A5AFA FF015118
	v_mul_f32_dpp v46, v24, v46 row_newbcast:2 row_mask:0xf bank_mask:0xf// 000000003960: 0A5C5CFA FF015218
	v_mul_f32_dpp v47, v24, v47 row_newbcast:3 row_mask:0xf bank_mask:0xf// 000000003968: 0A5E5EFA FF015318
	v_mul_f32_dpp v48, v24, v48 row_newbcast:0 row_mask:0xf bank_mask:0xf// 000000003970: 0A6060FA FF015018
	v_mul_f32_dpp v49, v24, v49 row_newbcast:1 row_mask:0xf bank_mask:0xf// 000000003978: 0A6262FA FF015118
	v_mul_f32_dpp v50, v24, v50 row_newbcast:2 row_mask:0xf bank_mask:0xf// 000000003980: 0A6464FA FF015218
	v_mul_f32_dpp v51, v24, v51 row_newbcast:3 row_mask:0xf bank_mask:0xf// 000000003988: 0A6666FA FF015318
	v_mul_f32_dpp v52, v27, v52 row_newbcast:0 row_mask:0xf bank_mask:0xf// 000000003990: 0A6868FA FF01501B
	v_mul_f32_dpp v53, v27, v53 row_newbcast:1 row_mask:0xf bank_mask:0xf// 000000003998: 0A6A6AFA FF01511B
	v_mul_f32_dpp v54, v27, v54 row_newbcast:2 row_mask:0xf bank_mask:0xf// 0000000039A0: 0A6C6CFA FF01521B
	v_mul_f32_dpp v55, v27, v55 row_newbcast:3 row_mask:0xf bank_mask:0xf// 0000000039A8: 0A6E6EFA FF01531B
	v_mul_f32_dpp v56, v27, v56 row_newbcast:0 row_mask:0xf bank_mask:0xf// 0000000039B0: 0A7070FA FF01501B
	v_mul_f32_dpp v57, v27, v57 row_newbcast:1 row_mask:0xf bank_mask:0xf// 0000000039B8: 0A7272FA FF01511B
	v_mul_f32_dpp v58, v27, v58 row_newbcast:2 row_mask:0xf bank_mask:0xf// 0000000039C0: 0A7474FA FF01521B
	v_mul_f32_dpp v59, v27, v59 row_newbcast:3 row_mask:0xf bank_mask:0xf// 0000000039C8: 0A7676FA FF01531B
	v_mul_f32_e32 v32, v32, v60                                // 0000000039D0: 0A407920
	v_mov_b32_e32 v4, v32                                      // 0000000039D4: 7E080320
	v_mov_b32_e32 v5, v4                                       // 0000000039D8: 7E0A0304
	v_pk_mul_f32 v[44:45], v[4:5], v[44:45]                    // 0000000039DC: D3B1402C 18025904
	v_pk_mul_f32 v[52:53], v[4:5], v[52:53]                    // 0000000039E4: D3B14034 18026904
	v_pk_mul_f32 v[46:47], v[4:5], v[46:47]                    // 0000000039EC: D3B1402E 18025D04
	v_pk_mul_f32 v[54:55], v[4:5], v[54:55]                    // 0000000039F4: D3B14036 18026D04
	v_mul_f32_e32 v33, v33, v61                                // 0000000039FC: 0A427B21
	v_mov_b32_e32 v4, v33                                      // 000000003A00: 7E080321
	v_mov_b32_e32 v5, v4                                       // 000000003A04: 7E0A0304
	v_pk_mul_f32 v[48:49], v[4:5], v[48:49]                    // 000000003A08: D3B14030 18026104
	v_pk_mul_f32 v[56:57], v[4:5], v[56:57]                    // 000000003A10: D3B14038 18027104
	v_pk_mul_f32 v[50:51], v[4:5], v[50:51]                    // 000000003A18: D3B14032 18026504
	v_pk_mul_f32 v[58:59], v[4:5], v[58:59]                    // 000000003A20: D3B1403A 18027504
	s_cmp_eq_u32 s88, 0                                        // 000000003A28: BF068058
	s_cbranch_scc0 label_05A1                                  // 000000003A2C: BF840195
	s_cmp_eq_u32 s89, 0                                        // 000000003A30: BF068059
	s_cbranch_scc1 label_0463                                  // 000000003A34: BF850055
	v_mov_b32_e32 v8, v1                                       // 000000003A38: 7E100301
	v_mov_b32_e32 v9, v1                                       // 000000003A3C: 7E120301
	s_mov_b32 s60, s6                                          // 000000003A40: BEBC0006
	s_mov_b32 s61, s6                                          // 000000003A44: BEBD0006
	v_pk_mul_f32 v[4:5], v[44:45], v[44:45]                    // 000000003A48: D3B14004 1802592C
	v_pk_mul_f32 v[6:7], v[46:47], v[46:47]                    // 000000003A50: D3B14006 18025D2E
	v_pk_fma_f32 v[4:5], v[4:5], s[78:79], v[8:9]              // 000000003A58: D3B04004 1C209D04
	v_pk_fma_f32 v[6:7], v[6:7], s[78:79], v[8:9]              // 000000003A60: D3B04006 1C209D06
	v_pk_mul_f32 v[4:5], v[4:5], v[44:45]                      // 000000003A68: D3B14004 18025904
	v_pk_mul_f32 v[6:7], v[6:7], v[46:47]                      // 000000003A70: D3B14006 18025D06
	v_pk_mul_f32 v[4:5], v[4:5], s[60:61]                      // 000000003A78: D3B14004 18007904
	v_pk_mul_f32 v[6:7], v[6:7], s[60:61]                      // 000000003A80: D3B14006 18007906
	v_exp_f32_e32 v4, v4                                       // 000000003A88: 7E084104
	v_exp_f32_e32 v5, v5                                       // 000000003A8C: 7E0A4105
	v_exp_f32_e32 v6, v6                                       // 000000003A90: 7E0C4106
	v_exp_f32_e32 v7, v7                                       // 000000003A94: 7E0E4107
	v_add_f32_e64 v4, v4, 1.0                                  // 000000003A98: D1010004 0001E504
	v_add_f32_e64 v5, v5, 1.0                                  // 000000003AA0: D1010005 0001E505
	v_add_f32_e64 v6, v6, 1.0                                  // 000000003AA8: D1010006 0001E506
	v_add_f32_e64 v7, v7, 1.0                                  // 000000003AB0: D1010007 0001E507
	v_rcp_f32_e32 v4, v4                                       // 000000003AB8: 7E084504
	v_rcp_f32_e32 v5, v5                                       // 000000003ABC: 7E0A4505
	v_rcp_f32_e32 v6, v6                                       // 000000003AC0: 7E0C4506
	v_rcp_f32_e32 v7, v7                                       // 000000003AC4: 7E0E4507
	v_mul_f32_e32 v44, v44, v4                                 // 000000003AC8: 0A58092C
	v_mul_f32_e32 v45, v45, v5                                 // 000000003ACC: 0A5A0B2D
	v_mul_f32_e32 v46, v46, v6                                 // 000000003AD0: 0A5C0D2E
	v_mul_f32_e32 v47, v47, v7                                 // 000000003AD4: 0A5E0F2F
	v_mul_f32_e32 v44, v44, v52                                // 000000003AD8: 0A58692C
	v_mul_f32_e32 v45, v45, v53                                // 000000003ADC: 0A5A6B2D
	v_mul_f32_e32 v46, v46, v54                                // 000000003AE0: 0A5C6D2E
	v_mul_f32_e32 v47, v47, v55                                // 000000003AE4: 0A5E6F2F
	v_pk_mul_f32 v[4:5], v[48:49], v[48:49]                    // 000000003AE8: D3B14004 18026130
	v_pk_mul_f32 v[6:7], v[50:51], v[50:51]                    // 000000003AF0: D3B14006 18026532
	v_pk_fma_f32 v[4:5], v[4:5], s[78:79], v[8:9]              // 000000003AF8: D3B04004 1C209D04
	v_pk_fma_f32 v[6:7], v[6:7], s[78:79], v[8:9]              // 000000003B00: D3B04006 1C209D06
	v_pk_mul_f32 v[4:5], v[4:5], v[48:49]                      // 000000003B08: D3B14004 18026104
	v_pk_mul_f32 v[6:7], v[6:7], v[50:51]                      // 000000003B10: D3B14006 18026506
	v_pk_mul_f32 v[4:5], v[4:5], s[60:61]                      // 000000003B18: D3B14004 18007904
	v_pk_mul_f32 v[6:7], v[6:7], s[60:61]                      // 000000003B20: D3B14006 18007906
	v_exp_f32_e32 v4, v4                                       // 000000003B28: 7E084104
	v_exp_f32_e32 v5, v5                                       // 000000003B2C: 7E0A4105
	v_exp_f32_e32 v6, v6                                       // 000000003B30: 7E0C4106
	v_exp_f32_e32 v7, v7                                       // 000000003B34: 7E0E4107
	v_add_f32_e64 v4, v4, 1.0                                  // 000000003B38: D1010004 0001E504
	v_add_f32_e64 v5, v5, 1.0                                  // 000000003B40: D1010005 0001E505
	v_add_f32_e64 v6, v6, 1.0                                  // 000000003B48: D1010006 0001E506
	v_add_f32_e64 v7, v7, 1.0                                  // 000000003B50: D1010007 0001E507
	v_rcp_f32_e32 v4, v4                                       // 000000003B58: 7E084504
	v_rcp_f32_e32 v5, v5                                       // 000000003B5C: 7E0A4505
	v_rcp_f32_e32 v6, v6                                       // 000000003B60: 7E0C4506
	v_rcp_f32_e32 v7, v7                                       // 000000003B64: 7E0E4507
	v_mul_f32_e32 v48, v48, v4                                 // 000000003B68: 0A600930
	v_mul_f32_e32 v49, v49, v5                                 // 000000003B6C: 0A620B31
	v_mul_f32_e32 v50, v50, v6                                 // 000000003B70: 0A640D32
	v_mul_f32_e32 v51, v51, v7                                 // 000000003B74: 0A660F33
	v_mul_f32_e32 v48, v48, v56                                // 000000003B78: 0A607130
	v_mul_f32_e32 v49, v49, v57                                // 000000003B7C: 0A627331
	v_mul_f32_e32 v50, v50, v58                                // 000000003B80: 0A647532
	v_mul_f32_e32 v51, v51, v59                                // 000000003B84: 0A667733
	s_branch label_04A3                                        // 000000003B88: BF820040

0000000000003b8c <label_0463>:
	v_mul_f32_e64 v4, -v44, s6                                 // 000000003B8C: D1050004 20000D2C
	v_mul_f32_e64 v5, -v45, s6                                 // 000000003B94: D1050005 20000D2D
	v_mul_f32_e64 v6, -v46, s6                                 // 000000003B9C: D1050006 20000D2E
	v_mul_f32_e64 v7, -v47, s6                                 // 000000003BA4: D1050007 20000D2F
	v_exp_f32_e32 v4, v4                                       // 000000003BAC: 7E084104
	v_exp_f32_e32 v5, v5                                       // 000000003BB0: 7E0A4105
	v_exp_f32_e32 v6, v6                                       // 000000003BB4: 7E0C4106
	v_exp_f32_e32 v7, v7                                       // 000000003BB8: 7E0E4107
	v_add_f32_e64 v4, v4, 1.0                                  // 000000003BBC: D1010004 0001E504
	v_add_f32_e64 v5, v5, 1.0                                  // 000000003BC4: D1010005 0001E505
	v_add_f32_e64 v6, v6, 1.0                                  // 000000003BCC: D1010006 0001E506
	v_add_f32_e64 v7, v7, 1.0                                  // 000000003BD4: D1010007 0001E507
	v_rcp_f32_e32 v4, v4                                       // 000000003BDC: 7E084504
	v_rcp_f32_e32 v5, v5                                       // 000000003BE0: 7E0A4505
	v_rcp_f32_e32 v6, v6                                       // 000000003BE4: 7E0C4506
	v_rcp_f32_e32 v7, v7                                       // 000000003BE8: 7E0E4507
	v_mul_f32_e32 v44, v44, v4                                 // 000000003BEC: 0A58092C
	v_mul_f32_e32 v45, v45, v5                                 // 000000003BF0: 0A5A0B2D
	v_mul_f32_e32 v46, v46, v6                                 // 000000003BF4: 0A5C0D2E
	v_mul_f32_e32 v47, v47, v7                                 // 000000003BF8: 0A5E0F2F
	v_mul_f32_e32 v44, v44, v52                                // 000000003BFC: 0A58692C
	v_mul_f32_e32 v45, v45, v53                                // 000000003C00: 0A5A6B2D
	v_mul_f32_e32 v46, v46, v54                                // 000000003C04: 0A5C6D2E
	v_mul_f32_e32 v47, v47, v55                                // 000000003C08: 0A5E6F2F
	v_mul_f32_e64 v4, -v48, s6                                 // 000000003C0C: D1050004 20000D30
	v_mul_f32_e64 v5, -v49, s6                                 // 000000003C14: D1050005 20000D31
	v_mul_f32_e64 v6, -v50, s6                                 // 000000003C1C: D1050006 20000D32
	v_mul_f32_e64 v7, -v51, s6                                 // 000000003C24: D1050007 20000D33
	v_exp_f32_e32 v4, v4                                       // 000000003C2C: 7E084104
	v_exp_f32_e32 v5, v5                                       // 000000003C30: 7E0A4105
	v_exp_f32_e32 v6, v6                                       // 000000003C34: 7E0C4106
	v_exp_f32_e32 v7, v7                                       // 000000003C38: 7E0E4107
	v_add_f32_e64 v4, v4, 1.0                                  // 000000003C3C: D1010004 0001E504
	v_add_f32_e64 v5, v5, 1.0                                  // 000000003C44: D1010005 0001E505
	v_add_f32_e64 v6, v6, 1.0                                  // 000000003C4C: D1010006 0001E506
	v_add_f32_e64 v7, v7, 1.0                                  // 000000003C54: D1010007 0001E507
	v_rcp_f32_e32 v4, v4                                       // 000000003C5C: 7E084504
	v_rcp_f32_e32 v5, v5                                       // 000000003C60: 7E0A4505
	v_rcp_f32_e32 v6, v6                                       // 000000003C64: 7E0C4506
	v_rcp_f32_e32 v7, v7                                       // 000000003C68: 7E0E4507
	v_mul_f32_e32 v48, v48, v4                                 // 000000003C6C: 0A600930
	v_mul_f32_e32 v49, v49, v5                                 // 000000003C70: 0A620B31
	v_mul_f32_e32 v50, v50, v6                                 // 000000003C74: 0A640D32
	v_mul_f32_e32 v51, v51, v7                                 // 000000003C78: 0A660F33
	v_mul_f32_e32 v48, v48, v56                                // 000000003C7C: 0A607130
	v_mul_f32_e32 v49, v49, v57                                // 000000003C80: 0A627331
	v_mul_f32_e32 v50, v50, v58                                // 000000003C84: 0A647532
	v_mul_f32_e32 v51, v51, v59                                // 000000003C88: 0A667733

0000000000003c8c <label_04A3>:
	v_cmp_u_f32_e64 s[46:47], v44, v44                         // 000000003C8C: D048002E 0002592C
	v_add3_u32 v16, v44, v19, 1                                // 000000003C94: D1FF0010 0206272C
	v_cndmask_b32_e64 v4, v16, v18, s[46:47]                   // 000000003C9C: D1000004 00BA2510
	v_cmp_u_f32_e64 s[46:47], v45, v45                         // 000000003CA4: D048002E 00025B2D
	v_add3_u32 v16, v45, v19, 1                                // 000000003CAC: D1FF0010 0206272D
	v_cndmask_b32_e64 v5, v16, v18, s[46:47]                   // 000000003CB4: D1000005 00BA2510
	v_perm_b32 v44, v5, v4, s52                                // 000000003CBC: D1ED002C 00D20905
	v_cmp_u_f32_e64 s[46:47], v46, v46                         // 000000003CC4: D048002E 00025D2E
	v_add3_u32 v16, v46, v19, 1                                // 000000003CCC: D1FF0010 0206272E
	v_cndmask_b32_e64 v4, v16, v18, s[46:47]                   // 000000003CD4: D1000004 00BA2510
	v_cmp_u_f32_e64 s[46:47], v47, v47                         // 000000003CDC: D048002E 00025F2F
	v_add3_u32 v16, v47, v19, 1                                // 000000003CE4: D1FF0010 0206272F
	v_cndmask_b32_e64 v5, v16, v18, s[46:47]                   // 000000003CEC: D1000005 00BA2510
	v_perm_b32 v45, v5, v4, s52                                // 000000003CF4: D1ED002D 00D20905
	v_cmp_u_f32_e64 s[46:47], v48, v48                         // 000000003CFC: D048002E 00026130
	v_add3_u32 v16, v48, v19, 1                                // 000000003D04: D1FF0010 02062730
	v_cndmask_b32_e64 v4, v16, v18, s[46:47]                   // 000000003D0C: D1000004 00BA2510
	v_cmp_u_f32_e64 s[46:47], v49, v49                         // 000000003D14: D048002E 00026331
	v_add3_u32 v16, v49, v19, 1                                // 000000003D1C: D1FF0010 02062731
	v_cndmask_b32_e64 v5, v16, v18, s[46:47]                   // 000000003D24: D1000005 00BA2510
	v_perm_b32 v46, v5, v4, s52                                // 000000003D2C: D1ED002E 00D20905
	v_cmp_u_f32_e64 s[46:47], v50, v50                         // 000000003D34: D048002E 00026532
	v_add3_u32 v16, v50, v19, 1                                // 000000003D3C: D1FF0010 02062732
	v_cndmask_b32_e64 v4, v16, v18, s[46:47]                   // 000000003D44: D1000004 00BA2510
	v_cmp_u_f32_e64 s[46:47], v51, v51                         // 000000003D4C: D048002E 00026733
	v_add3_u32 v16, v51, v19, 1                                // 000000003D54: D1FF0010 02062733
	v_cndmask_b32_e64 v5, v16, v18, s[46:47]                   // 000000003D5C: D1000005 00BA2510
	v_perm_b32 v47, v5, v4, s52                                // 000000003D64: D1ED002F 00D20905
	ds_write_b64 v20, v[44:45]                                 // 000000003D6C: D89A0000 00002C14
	ds_write_b64 v20, v[46:47] offset:2176                     // 000000003D74: D89A0880 00002E14
	v_lshrrev_b32_e32 v4, 5, v0                                // 000000003D7C: 20080085
	v_xor_b32_e32 v5, 1, v4                                    // 000000003D80: 2A0A0881
	s_mul_i32 s60, s65, 2                                      // 000000003D84: 923C8241
	s_cmp_eq_u32 s88, 0                                        // 000000003D88: BF068058
	s_cselect_b32 s61, 1, 4                                    // 000000003D8C: 853D8481
	s_mul_i32 s60, s61, s60                                    // 000000003D90: 923C3C3D
	v_readlane_b32 s82, v3, 0                                  // 000000003D94: D2890052 00010103
	s_lshr_b32 s61, s82, 24                                    // 000000003D9C: 8F3D9852
	s_and_b32 s82, s82, 0xffffff                               // 000000003DA0: 8652FF52 00FFFFFF
	s_mul_i32 s82, s82, s71                                    // 000000003DA8: 92524752
	s_mul_i32 s61, s60, s61                                    // 000000003DAC: 923D3D3C
	s_add_u32 s82, s82, s61                                    // 000000003DB0: 80523D52
	v_mul_lo_u32 v6, v5, s82                                   // 000000003DB4: D2850006 0000A505
	v_readlane_b32 s82, v3, 1                                  // 000000003DBC: D2890052 00010303
	s_lshr_b32 s61, s82, 24                                    // 000000003DC4: 8F3D9852
	s_and_b32 s82, s82, 0xffffff                               // 000000003DC8: 8652FF52 00FFFFFF
	s_mul_i32 s82, s82, s71                                    // 000000003DD0: 92524752
	s_mul_i32 s61, s60, s61                                    // 000000003DD4: 923D3D3C
	s_add_u32 s82, s82, s61                                    // 000000003DD8: 80523D52
	v_mul_lo_u32 v7, v4, s82                                   // 000000003DDC: D2850007 0000A504
	v_add_u32_e32 v38, v6, v7                                  // 000000003DE4: 684C0F06
	v_readlane_b32 s82, v3, 2                                  // 000000003DE8: D2890052 00010503
	s_lshr_b32 s61, s82, 24                                    // 000000003DF0: 8F3D9852
	s_and_b32 s82, s82, 0xffffff                               // 000000003DF4: 8652FF52 00FFFFFF
	s_mul_i32 s82, s82, s71                                    // 000000003DFC: 92524752
	s_mul_i32 s61, s60, s61                                    // 000000003E00: 923D3D3C
	s_add_u32 s82, s82, s61                                    // 000000003E04: 80523D52
	v_mul_lo_u32 v6, v5, s82                                   // 000000003E08: D2850006 0000A505
	v_readlane_b32 s82, v3, 3                                  // 000000003E10: D2890052 00010703
	s_lshr_b32 s61, s82, 24                                    // 000000003E18: 8F3D9852
	s_and_b32 s82, s82, 0xffffff                               // 000000003E1C: 8652FF52 00FFFFFF
	s_mul_i32 s82, s82, s71                                    // 000000003E24: 92524752
	s_mul_i32 s61, s60, s61                                    // 000000003E28: 923D3D3C
	s_add_u32 s82, s82, s61                                    // 000000003E2C: 80523D52
	v_mul_lo_u32 v7, v4, s82                                   // 000000003E30: D2850007 0000A504
	v_add_u32_e32 v39, v6, v7                                  // 000000003E38: 684E0F06
	v_readlane_b32 s82, v3, 4                                  // 000000003E3C: D2890052 00010903
	s_lshr_b32 s61, s82, 24                                    // 000000003E44: 8F3D9852
	s_and_b32 s82, s82, 0xffffff                               // 000000003E48: 8652FF52 00FFFFFF
	s_mul_i32 s82, s82, s71                                    // 000000003E50: 92524752
	s_mul_i32 s61, s60, s61                                    // 000000003E54: 923D3D3C
	s_add_u32 s82, s82, s61                                    // 000000003E58: 80523D52
	v_mul_lo_u32 v6, v5, s82                                   // 000000003E5C: D2850006 0000A505
	v_readlane_b32 s82, v3, 5                                  // 000000003E64: D2890052 00010B03
	s_lshr_b32 s61, s82, 24                                    // 000000003E6C: 8F3D9852
	s_and_b32 s82, s82, 0xffffff                               // 000000003E70: 8652FF52 00FFFFFF
	s_mul_i32 s82, s82, s71                                    // 000000003E78: 92524752
	s_mul_i32 s61, s60, s61                                    // 000000003E7C: 923D3D3C
	s_add_u32 s82, s82, s61                                    // 000000003E80: 80523D52
	v_mul_lo_u32 v7, v4, s82                                   // 000000003E84: D2850007 0000A504
	v_add_u32_e32 v40, v6, v7                                  // 000000003E8C: 68500F06
	v_readlane_b32 s82, v3, 6                                  // 000000003E90: D2890052 00010D03
	s_lshr_b32 s61, s82, 24                                    // 000000003E98: 8F3D9852
	s_and_b32 s82, s82, 0xffffff                               // 000000003E9C: 8652FF52 00FFFFFF
	s_mul_i32 s82, s82, s71                                    // 000000003EA4: 92524752
	s_mul_i32 s61, s60, s61                                    // 000000003EA8: 923D3D3C
	s_add_u32 s82, s82, s61                                    // 000000003EAC: 80523D52
	v_mul_lo_u32 v6, v5, s82                                   // 000000003EB0: D2850006 0000A505
	v_readlane_b32 s82, v3, 7                                  // 000000003EB8: D2890052 00010F03
	s_lshr_b32 s61, s82, 24                                    // 000000003EC0: 8F3D9852
	s_and_b32 s82, s82, 0xffffff                               // 000000003EC4: 8652FF52 00FFFFFF
	s_mul_i32 s82, s82, s71                                    // 000000003ECC: 92524752
	s_mul_i32 s61, s60, s61                                    // 000000003ED0: 923D3D3C
	s_add_u32 s82, s82, s61                                    // 000000003ED4: 80523D52
	v_mul_lo_u32 v7, v4, s82                                   // 000000003ED8: D2850007 0000A504
	v_add_u32_e32 v41, v6, v7                                  // 000000003EE0: 68520F06
	v_and_b32_e32 v4, 31, v0                                   // 000000003EE4: 2608009F
	v_lshrrev_b32_e32 v4, 1, v4                                // 000000003EE8: 20080881
	s_cmp_eq_u32 s88, 0                                        // 000000003EEC: BF068058
	s_cselect_b32 s61, 2, 4                                    // 000000003EF0: 853D8482
	v_mul_lo_u32 v4, v4, s61                                   // 000000003EF4: D2850004 00007B04
	v_and_b32_e64 v5, v0, 1                                    // 000000003EFC: D1130005 00010300
	v_add_u32_e32 v4, v4, v5                                   // 000000003F04: 68080B04
	v_lshlrev_b32_e32 v4, 2, v4                                // 000000003F08: 24080882
	v_add_u32_e32 v38, v38, v4                                 // 000000003F0C: 684C0926
	v_add_u32_e32 v39, v39, v4                                 // 000000003F10: 684E0927
	v_add_u32_e32 v40, v40, v4                                 // 000000003F14: 68500928
	v_add_u32_e32 v41, v41, v4                                 // 000000003F18: 68520929
	s_waitcnt lgkmcnt(0)                                       // 000000003F1C: BF8CC07F
	s_barrier                                                  // 000000003F20: BF8A0000
	ds_read_b32 v44, v21                                       // 000000003F24: D86C0000 2C000015
	ds_read_b32 v45, v21 offset:64                             // 000000003F2C: D86C0040 2D000015
	ds_read_b32 v46, v21 offset:2176                           // 000000003F34: D86C0880 2E000015
	ds_read_b32 v47, v21 offset:2240                           // 000000003F3C: D86C08C0 2F000015
	s_waitcnt lgkmcnt(0)                                       // 000000003F44: BF8CC07F
	s_mov_b32 s36, -1                                          // 000000003F48: BEA400C1
	s_mov_b32 s37, -1                                          // 000000003F4C: BEA500C1
	v_mov_b32_e32 v7, 0                                        // 000000003F50: 7E0E0280
	s_or_b32 s9, s9, 0x40000                                   // 000000003F54: 8709FF09 00040000
	s_mov_b64 exec, s[36:37]                                   // 000000003F5C: BEFE0124
	v_mov_b32_e32 v6, v38                                      // 000000003F60: 7E0C0326
	s_mov_b64 s[60:61], 0                                      // 000000003F64: BEBC0180
	v_readlane_b32 s82, v3, 0                                  // 000000003F68: D2890052 00010103
	s_and_b32 s82, s82, 0xffffff                               // 000000003F70: 8652FF52 00FFFFFF
	s_cmp_lt_u32 s82, s66                                      // 000000003F78: BF0A4252
	s_cselect_b32 s20, s36, s60                                // 000000003F7C: 85143C24
	v_readlane_b32 s82, v3, 1                                  // 000000003F80: D2890052 00010303
	s_and_b32 s82, s82, 0xffffff                               // 000000003F88: 8652FF52 00FFFFFF
	s_cmp_lt_u32 s82, s66                                      // 000000003F90: BF0A4252
	s_cselect_b32 s21, s36, s60                                // 000000003F94: 85153C24
	s_mov_b64 exec, s[20:21]                                   // 000000003F98: BEFE0114
	buffer_store_dword v44, v6, s[8:11], 0 offen               // 000000003F9C: E0701000 80022C06
	s_mov_b64 exec, s[36:37]                                   // 000000003FA4: BEFE0124
	v_mov_b32_e32 v6, v39                                      // 000000003FA8: 7E0C0327
	s_mov_b64 s[60:61], 0                                      // 000000003FAC: BEBC0180
	v_readlane_b32 s82, v3, 2                                  // 000000003FB0: D2890052 00010503
	s_and_b32 s82, s82, 0xffffff                               // 000000003FB8: 8652FF52 00FFFFFF
	s_cmp_lt_u32 s82, s66                                      // 000000003FC0: BF0A4252
	s_cselect_b32 s20, s36, s60                                // 000000003FC4: 85143C24
	v_readlane_b32 s82, v3, 3                                  // 000000003FC8: D2890052 00010703
	s_and_b32 s82, s82, 0xffffff                               // 000000003FD0: 8652FF52 00FFFFFF
	s_cmp_lt_u32 s82, s66                                      // 000000003FD8: BF0A4252
	s_cselect_b32 s21, s36, s60                                // 000000003FDC: 85153C24
	s_mov_b64 exec, s[20:21]                                   // 000000003FE0: BEFE0114
	buffer_store_dword v45, v6, s[8:11], 0 offen               // 000000003FE4: E0701000 80022D06
	s_mov_b64 exec, s[36:37]                                   // 000000003FEC: BEFE0124
	v_mov_b32_e32 v6, v40                                      // 000000003FF0: 7E0C0328
	s_mov_b64 s[60:61], 0                                      // 000000003FF4: BEBC0180
	v_readlane_b32 s82, v3, 4                                  // 000000003FF8: D2890052 00010903
	s_and_b32 s82, s82, 0xffffff                               // 000000004000: 8652FF52 00FFFFFF
	s_cmp_lt_u32 s82, s66                                      // 000000004008: BF0A4252
	s_cselect_b32 s20, s36, s60                                // 00000000400C: 85143C24
	v_readlane_b32 s82, v3, 5                                  // 000000004010: D2890052 00010B03
	s_and_b32 s82, s82, 0xffffff                               // 000000004018: 8652FF52 00FFFFFF
	s_cmp_lt_u32 s82, s66                                      // 000000004020: BF0A4252
	s_cselect_b32 s21, s36, s60                                // 000000004024: 85153C24
	s_mov_b64 exec, s[20:21]                                   // 000000004028: BEFE0114
	buffer_store_dword v46, v6, s[8:11], 0 offen               // 00000000402C: E0701000 80022E06
	s_mov_b64 exec, s[36:37]                                   // 000000004034: BEFE0124
	v_mov_b32_e32 v6, v41                                      // 000000004038: 7E0C0329
	s_mov_b64 s[60:61], 0                                      // 00000000403C: BEBC0180
	v_readlane_b32 s82, v3, 6                                  // 000000004040: D2890052 00010D03
	s_and_b32 s82, s82, 0xffffff                               // 000000004048: 8652FF52 00FFFFFF
	s_cmp_lt_u32 s82, s66                                      // 000000004050: BF0A4252
	s_cselect_b32 s20, s36, s60                                // 000000004054: 85143C24
	v_readlane_b32 s82, v3, 7                                  // 000000004058: D2890052 00010F03
	s_and_b32 s82, s82, 0xffffff                               // 000000004060: 8652FF52 00FFFFFF
	s_cmp_lt_u32 s82, s66                                      // 000000004068: BF0A4252
	s_cselect_b32 s21, s36, s60                                // 00000000406C: 85153C24
	s_mov_b64 exec, s[20:21]                                   // 000000004070: BEFE0114
	buffer_store_dword v47, v6, s[8:11], 0 offen               // 000000004074: E0701000 80022F06
	s_mov_b64 exec, s[36:37]                                   // 00000000407C: BEFE0124
	s_branch label_0D20                                        // 000000004080: BF82077C

0000000000004084 <label_05A1>:
	ds_write_b64 v20, v[44:45]                                 // 000000004084: D89A0000 00002C14
	ds_write_b64 v20, v[48:49] offset:2176                     // 00000000408C: D89A0880 00003014
	v_lshrrev_b32_e32 v4, 5, v0                                // 000000004094: 20080085
	v_xor_b32_e32 v5, 1, v4                                    // 000000004098: 2A0A0881
	s_mul_i32 s60, s65, 2                                      // 00000000409C: 923C8241
	s_cmp_eq_u32 s88, 0                                        // 0000000040A0: BF068058
	s_cselect_b32 s61, 1, 4                                    // 0000000040A4: 853D8481
	s_mul_i32 s60, s61, s60                                    // 0000000040A8: 923C3C3D
	v_readlane_b32 s82, v3, 0                                  // 0000000040AC: D2890052 00010103
	s_lshr_b32 s61, s82, 24                                    // 0000000040B4: 8F3D9852
	s_and_b32 s82, s82, 0xffffff                               // 0000000040B8: 8652FF52 00FFFFFF
	s_mul_i32 s82, s82, s71                                    // 0000000040C0: 92524752
	s_mul_i32 s61, s60, s61                                    // 0000000040C4: 923D3D3C
	s_add_u32 s82, s82, s61                                    // 0000000040C8: 80523D52
	v_mul_lo_u32 v6, v5, s82                                   // 0000000040CC: D2850006 0000A505
	v_readlane_b32 s82, v3, 1                                  // 0000000040D4: D2890052 00010303
	s_lshr_b32 s61, s82, 24                                    // 0000000040DC: 8F3D9852
	s_and_b32 s82, s82, 0xffffff                               // 0000000040E0: 8652FF52 00FFFFFF
	s_mul_i32 s82, s82, s71                                    // 0000000040E8: 92524752
	s_mul_i32 s61, s60, s61                                    // 0000000040EC: 923D3D3C
	s_add_u32 s82, s82, s61                                    // 0000000040F0: 80523D52
	v_mul_lo_u32 v7, v4, s82                                   // 0000000040F4: D2850007 0000A504
	v_add_u32_e32 v38, v6, v7                                  // 0000000040FC: 684C0F06
	v_readlane_b32 s82, v3, 2                                  // 000000004100: D2890052 00010503
	s_lshr_b32 s61, s82, 24                                    // 000000004108: 8F3D9852
	s_and_b32 s82, s82, 0xffffff                               // 00000000410C: 8652FF52 00FFFFFF
	s_mul_i32 s82, s82, s71                                    // 000000004114: 92524752
	s_mul_i32 s61, s60, s61                                    // 000000004118: 923D3D3C
	s_add_u32 s82, s82, s61                                    // 00000000411C: 80523D52
	v_mul_lo_u32 v6, v5, s82                                   // 000000004120: D2850006 0000A505
	v_readlane_b32 s82, v3, 3                                  // 000000004128: D2890052 00010703
	s_lshr_b32 s61, s82, 24                                    // 000000004130: 8F3D9852
	s_and_b32 s82, s82, 0xffffff                               // 000000004134: 8652FF52 00FFFFFF
	s_mul_i32 s82, s82, s71                                    // 00000000413C: 92524752
	s_mul_i32 s61, s60, s61                                    // 000000004140: 923D3D3C
	s_add_u32 s82, s82, s61                                    // 000000004144: 80523D52
	v_mul_lo_u32 v7, v4, s82                                   // 000000004148: D2850007 0000A504
	v_add_u32_e32 v39, v6, v7                                  // 000000004150: 684E0F06
	v_readlane_b32 s82, v3, 4                                  // 000000004154: D2890052 00010903
	s_lshr_b32 s61, s82, 24                                    // 00000000415C: 8F3D9852
	s_and_b32 s82, s82, 0xffffff                               // 000000004160: 8652FF52 00FFFFFF
	s_mul_i32 s82, s82, s71                                    // 000000004168: 92524752
	s_mul_i32 s61, s60, s61                                    // 00000000416C: 923D3D3C
	s_add_u32 s82, s82, s61                                    // 000000004170: 80523D52
	v_mul_lo_u32 v6, v5, s82                                   // 000000004174: D2850006 0000A505
	v_readlane_b32 s82, v3, 5                                  // 00000000417C: D2890052 00010B03
	s_lshr_b32 s61, s82, 24                                    // 000000004184: 8F3D9852
	s_and_b32 s82, s82, 0xffffff                               // 000000004188: 8652FF52 00FFFFFF
	s_mul_i32 s82, s82, s71                                    // 000000004190: 92524752
	s_mul_i32 s61, s60, s61                                    // 000000004194: 923D3D3C
	s_add_u32 s82, s82, s61                                    // 000000004198: 80523D52
	v_mul_lo_u32 v7, v4, s82                                   // 00000000419C: D2850007 0000A504
	v_add_u32_e32 v40, v6, v7                                  // 0000000041A4: 68500F06
	v_readlane_b32 s82, v3, 6                                  // 0000000041A8: D2890052 00010D03
	s_lshr_b32 s61, s82, 24                                    // 0000000041B0: 8F3D9852
	s_and_b32 s82, s82, 0xffffff                               // 0000000041B4: 8652FF52 00FFFFFF
	s_mul_i32 s82, s82, s71                                    // 0000000041BC: 92524752
	s_mul_i32 s61, s60, s61                                    // 0000000041C0: 923D3D3C
	s_add_u32 s82, s82, s61                                    // 0000000041C4: 80523D52
	v_mul_lo_u32 v6, v5, s82                                   // 0000000041C8: D2850006 0000A505
	v_readlane_b32 s82, v3, 7                                  // 0000000041D0: D2890052 00010F03
	s_lshr_b32 s61, s82, 24                                    // 0000000041D8: 8F3D9852
	s_and_b32 s82, s82, 0xffffff                               // 0000000041DC: 8652FF52 00FFFFFF
	s_mul_i32 s82, s82, s71                                    // 0000000041E4: 92524752
	s_mul_i32 s61, s60, s61                                    // 0000000041E8: 923D3D3C
	s_add_u32 s82, s82, s61                                    // 0000000041EC: 80523D52
	v_mul_lo_u32 v7, v4, s82                                   // 0000000041F0: D2850007 0000A504
	v_add_u32_e32 v41, v6, v7                                  // 0000000041F8: 68520F06
	v_and_b32_e32 v4, 31, v0                                   // 0000000041FC: 2608009F
	v_lshrrev_b32_e32 v4, 1, v4                                // 000000004200: 20080881
	s_cmp_eq_u32 s88, 0                                        // 000000004204: BF068058
	s_cselect_b32 s61, 2, 4                                    // 000000004208: 853D8482
	v_mul_lo_u32 v4, v4, s61                                   // 00000000420C: D2850004 00007B04
	v_and_b32_e64 v5, v0, 1                                    // 000000004214: D1130005 00010300
	v_add_u32_e32 v4, v4, v5                                   // 00000000421C: 68080B04
	v_lshlrev_b32_e32 v4, 2, v4                                // 000000004220: 24080882
	v_add_u32_e32 v38, v38, v4                                 // 000000004224: 684C0926
	v_add_u32_e32 v39, v39, v4                                 // 000000004228: 684E0927
	v_add_u32_e32 v40, v40, v4                                 // 00000000422C: 68500928
	v_add_u32_e32 v41, v41, v4                                 // 000000004230: 68520929
	s_waitcnt lgkmcnt(0)                                       // 000000004234: BF8CC07F
	s_barrier                                                  // 000000004238: BF8A0000
	ds_read_b32 v44, v21                                       // 00000000423C: D86C0000 2C000015
	ds_read_b32 v45, v21 offset:64                             // 000000004244: D86C0040 2D000015
	ds_read_b32 v48, v21 offset:2176                           // 00000000424C: D86C0880 30000015
	ds_read_b32 v49, v21 offset:2240                           // 000000004254: D86C08C0 31000015
	s_waitcnt lgkmcnt(0)                                       // 00000000425C: BF8CC07F
	s_mov_b32 s36, -1                                          // 000000004260: BEA400C1
	s_mov_b32 s37, -1                                          // 000000004264: BEA500C1
	v_mov_b32_e32 v7, 0                                        // 000000004268: 7E0E0280
	s_mov_b64 exec, s[36:37]                                   // 00000000426C: BEFE0124
	v_mov_b32_e32 v6, v38                                      // 000000004270: 7E0C0326
	s_mov_b64 s[60:61], 0                                      // 000000004274: BEBC0180
	v_readlane_b32 s82, v3, 0                                  // 000000004278: D2890052 00010103
	s_and_b32 s82, s82, 0xffffff                               // 000000004280: 8652FF52 00FFFFFF
	s_cmp_lt_u32 s82, s66                                      // 000000004288: BF0A4252
	s_cselect_b32 s20, s36, s60                                // 00000000428C: 85143C24
	v_readlane_b32 s82, v3, 1                                  // 000000004290: D2890052 00010303
	s_and_b32 s82, s82, 0xffffff                               // 000000004298: 8652FF52 00FFFFFF
	s_cmp_lt_u32 s82, s66                                      // 0000000042A0: BF0A4252
	s_cselect_b32 s21, s36, s60                                // 0000000042A4: 85153C24
	s_mov_b64 exec, s[20:21]                                   // 0000000042A8: BEFE0114
	global_atomic_add_f32 v6, v44, s[8:9]                      // 0000000042AC: DD348000 00082C06
	s_mov_b64 exec, s[36:37]                                   // 0000000042B4: BEFE0124
	v_mov_b32_e32 v6, v39                                      // 0000000042B8: 7E0C0327
	s_mov_b64 s[60:61], 0                                      // 0000000042BC: BEBC0180
	v_readlane_b32 s82, v3, 2                                  // 0000000042C0: D2890052 00010503
	s_and_b32 s82, s82, 0xffffff                               // 0000000042C8: 8652FF52 00FFFFFF
	s_cmp_lt_u32 s82, s66                                      // 0000000042D0: BF0A4252
	s_cselect_b32 s20, s36, s60                                // 0000000042D4: 85143C24
	v_readlane_b32 s82, v3, 3                                  // 0000000042D8: D2890052 00010703
	s_and_b32 s82, s82, 0xffffff                               // 0000000042E0: 8652FF52 00FFFFFF
	s_cmp_lt_u32 s82, s66                                      // 0000000042E8: BF0A4252
	s_cselect_b32 s21, s36, s60                                // 0000000042EC: 85153C24
	s_mov_b64 exec, s[20:21]                                   // 0000000042F0: BEFE0114
	global_atomic_add_f32 v6, v45, s[8:9]                      // 0000000042F4: DD348000 00082D06
	s_mov_b64 exec, s[36:37]                                   // 0000000042FC: BEFE0124
	v_mov_b32_e32 v6, v40                                      // 000000004300: 7E0C0328
	s_mov_b64 s[60:61], 0                                      // 000000004304: BEBC0180
	v_readlane_b32 s82, v3, 4                                  // 000000004308: D2890052 00010903
	s_and_b32 s82, s82, 0xffffff                               // 000000004310: 8652FF52 00FFFFFF
	s_cmp_lt_u32 s82, s66                                      // 000000004318: BF0A4252
	s_cselect_b32 s20, s36, s60                                // 00000000431C: 85143C24
	v_readlane_b32 s82, v3, 5                                  // 000000004320: D2890052 00010B03
	s_and_b32 s82, s82, 0xffffff                               // 000000004328: 8652FF52 00FFFFFF
	s_cmp_lt_u32 s82, s66                                      // 000000004330: BF0A4252
	s_cselect_b32 s21, s36, s60                                // 000000004334: 85153C24
	s_mov_b64 exec, s[20:21]                                   // 000000004338: BEFE0114
	global_atomic_add_f32 v6, v48, s[8:9]                      // 00000000433C: DD348000 00083006
	s_mov_b64 exec, s[36:37]                                   // 000000004344: BEFE0124
	v_mov_b32_e32 v6, v41                                      // 000000004348: 7E0C0329
	s_mov_b64 s[60:61], 0                                      // 00000000434C: BEBC0180
	v_readlane_b32 s82, v3, 6                                  // 000000004350: D2890052 00010D03
	s_and_b32 s82, s82, 0xffffff                               // 000000004358: 8652FF52 00FFFFFF
	s_cmp_lt_u32 s82, s66                                      // 000000004360: BF0A4252
	s_cselect_b32 s20, s36, s60                                // 000000004364: 85143C24
	v_readlane_b32 s82, v3, 7                                  // 000000004368: D2890052 00010F03
	s_and_b32 s82, s82, 0xffffff                               // 000000004370: 8652FF52 00FFFFFF
	s_cmp_lt_u32 s82, s66                                      // 000000004378: BF0A4252
	s_cselect_b32 s21, s36, s60                                // 00000000437C: 85153C24
	s_mov_b64 exec, s[20:21]                                   // 000000004380: BEFE0114
	global_atomic_add_f32 v6, v49, s[8:9]                      // 000000004384: DD348000 00083106
	s_mov_b64 exec, s[36:37]                                   // 00000000438C: BEFE0124
	ds_write_b64 v20, v[46:47]                                 // 000000004390: D89A0000 00002E14
	ds_write_b64 v20, v[50:51] offset:2176                     // 000000004398: D89A0880 00003214
	s_waitcnt lgkmcnt(0)                                       // 0000000043A0: BF8CC07F
	s_barrier                                                  // 0000000043A4: BF8A0000
	ds_read_b32 v46, v21                                       // 0000000043A8: D86C0000 2E000015
	ds_read_b32 v47, v21 offset:64                             // 0000000043B0: D86C0040 2F000015
	ds_read_b32 v50, v21 offset:2176                           // 0000000043B8: D86C0880 32000015
	ds_read_b32 v51, v21 offset:2240                           // 0000000043C0: D86C08C0 33000015
	s_waitcnt lgkmcnt(0)                                       // 0000000043C8: BF8CC07F
	v_mov_b32_e32 v7, 0                                        // 0000000043CC: 7E0E0280
	s_mov_b64 exec, s[36:37]                                   // 0000000043D0: BEFE0124
	v_mov_b32_e32 v6, v38                                      // 0000000043D4: 7E0C0326
	s_mov_b64 s[60:61], 0                                      // 0000000043D8: BEBC0180
	v_readlane_b32 s82, v3, 0                                  // 0000000043DC: D2890052 00010103
	s_and_b32 s82, s82, 0xffffff                               // 0000000043E4: 8652FF52 00FFFFFF
	s_cmp_lt_u32 s82, s66                                      // 0000000043EC: BF0A4252
	s_cselect_b32 s20, s36, s60                                // 0000000043F0: 85143C24
	v_readlane_b32 s82, v3, 1                                  // 0000000043F4: D2890052 00010303
	s_and_b32 s82, s82, 0xffffff                               // 0000000043FC: 8652FF52 00FFFFFF
	s_cmp_lt_u32 s82, s66                                      // 000000004404: BF0A4252
	s_cselect_b32 s21, s36, s60                                // 000000004408: 85153C24
	s_mov_b64 exec, s[20:21]                                   // 00000000440C: BEFE0114
	global_atomic_add_f32 v6, v46, s[8:9] offset:8             // 000000004410: DD348008 00082E06
	s_mov_b64 exec, s[36:37]                                   // 000000004418: BEFE0124
	v_mov_b32_e32 v6, v39                                      // 00000000441C: 7E0C0327
	s_mov_b64 s[60:61], 0                                      // 000000004420: BEBC0180
	v_readlane_b32 s82, v3, 2                                  // 000000004424: D2890052 00010503
	s_and_b32 s82, s82, 0xffffff                               // 00000000442C: 8652FF52 00FFFFFF
	s_cmp_lt_u32 s82, s66                                      // 000000004434: BF0A4252
	s_cselect_b32 s20, s36, s60                                // 000000004438: 85143C24
	v_readlane_b32 s82, v3, 3                                  // 00000000443C: D2890052 00010703
	s_and_b32 s82, s82, 0xffffff                               // 000000004444: 8652FF52 00FFFFFF
	s_cmp_lt_u32 s82, s66                                      // 00000000444C: BF0A4252
	s_cselect_b32 s21, s36, s60                                // 000000004450: 85153C24
	s_mov_b64 exec, s[20:21]                                   // 000000004454: BEFE0114
	global_atomic_add_f32 v6, v47, s[8:9] offset:8             // 000000004458: DD348008 00082F06
	s_mov_b64 exec, s[36:37]                                   // 000000004460: BEFE0124
	v_mov_b32_e32 v6, v40                                      // 000000004464: 7E0C0328
	s_mov_b64 s[60:61], 0                                      // 000000004468: BEBC0180
	v_readlane_b32 s82, v3, 4                                  // 00000000446C: D2890052 00010903
	s_and_b32 s82, s82, 0xffffff                               // 000000004474: 8652FF52 00FFFFFF
	s_cmp_lt_u32 s82, s66                                      // 00000000447C: BF0A4252
	s_cselect_b32 s20, s36, s60                                // 000000004480: 85143C24
	v_readlane_b32 s82, v3, 5                                  // 000000004484: D2890052 00010B03
	s_and_b32 s82, s82, 0xffffff                               // 00000000448C: 8652FF52 00FFFFFF
	s_cmp_lt_u32 s82, s66                                      // 000000004494: BF0A4252
	s_cselect_b32 s21, s36, s60                                // 000000004498: 85153C24
	s_mov_b64 exec, s[20:21]                                   // 00000000449C: BEFE0114
	global_atomic_add_f32 v6, v50, s[8:9] offset:8             // 0000000044A0: DD348008 00083206
	s_mov_b64 exec, s[36:37]                                   // 0000000044A8: BEFE0124
	v_mov_b32_e32 v6, v41                                      // 0000000044AC: 7E0C0329
	s_mov_b64 s[60:61], 0                                      // 0000000044B0: BEBC0180
	v_readlane_b32 s82, v3, 6                                  // 0000000044B4: D2890052 00010D03
	s_and_b32 s82, s82, 0xffffff                               // 0000000044BC: 8652FF52 00FFFFFF
	s_cmp_lt_u32 s82, s66                                      // 0000000044C4: BF0A4252
	s_cselect_b32 s20, s36, s60                                // 0000000044C8: 85143C24
	v_readlane_b32 s82, v3, 7                                  // 0000000044CC: D2890052 00010F03
	s_and_b32 s82, s82, 0xffffff                               // 0000000044D4: 8652FF52 00FFFFFF
	s_cmp_lt_u32 s82, s66                                      // 0000000044DC: BF0A4252
	s_cselect_b32 s21, s36, s60                                // 0000000044E0: 85153C24
	s_mov_b64 exec, s[20:21]                                   // 0000000044E4: BEFE0114
	global_atomic_add_f32 v6, v51, s[8:9] offset:8             // 0000000044E8: DD348008 00083306
	s_mov_b64 exec, s[36:37]                                   // 0000000044F0: BEFE0124
	ds_write_b64 v20, v[52:53]                                 // 0000000044F4: D89A0000 00003414
	ds_write_b64 v20, v[56:57] offset:2176                     // 0000000044FC: D89A0880 00003814
	s_waitcnt lgkmcnt(0)                                       // 000000004504: BF8CC07F
	s_barrier                                                  // 000000004508: BF8A0000
	ds_read_b32 v52, v21                                       // 00000000450C: D86C0000 34000015
	ds_read_b32 v53, v21 offset:64                             // 000000004514: D86C0040 35000015
	ds_read_b32 v56, v21 offset:2176                           // 00000000451C: D86C0880 38000015
	ds_read_b32 v57, v21 offset:2240                           // 000000004524: D86C08C0 39000015
	s_mul_i32 s60, s65, 4                                      // 00000000452C: 923C8441
	s_add_u32 s8, s60, s8                                      // 000000004530: 8008083C
	s_addc_u32 s9, 0, s9                                       // 000000004534: 82090980
	s_waitcnt lgkmcnt(0)                                       // 000000004538: BF8CC07F
	v_mov_b32_e32 v7, 0                                        // 00000000453C: 7E0E0280
	s_mov_b64 exec, s[36:37]                                   // 000000004540: BEFE0124
	v_mov_b32_e32 v6, v38                                      // 000000004544: 7E0C0326
	s_mov_b64 s[60:61], 0                                      // 000000004548: BEBC0180
	v_readlane_b32 s82, v3, 0                                  // 00000000454C: D2890052 00010103
	s_and_b32 s82, s82, 0xffffff                               // 000000004554: 8652FF52 00FFFFFF
	s_cmp_lt_u32 s82, s66                                      // 00000000455C: BF0A4252
	s_cselect_b32 s20, s36, s60                                // 000000004560: 85143C24
	v_readlane_b32 s82, v3, 1                                  // 000000004564: D2890052 00010303
	s_and_b32 s82, s82, 0xffffff                               // 00000000456C: 8652FF52 00FFFFFF
	s_cmp_lt_u32 s82, s66                                      // 000000004574: BF0A4252
	s_cselect_b32 s21, s36, s60                                // 000000004578: 85153C24
	s_mov_b64 exec, s[20:21]                                   // 00000000457C: BEFE0114
	global_atomic_add_f32 v6, v52, s[8:9]                      // 000000004580: DD348000 00083406
	s_mov_b64 exec, s[36:37]                                   // 000000004588: BEFE0124
	v_mov_b32_e32 v6, v39                                      // 00000000458C: 7E0C0327
	s_mov_b64 s[60:61], 0                                      // 000000004590: BEBC0180
	v_readlane_b32 s82, v3, 2                                  // 000000004594: D2890052 00010503
	s_and_b32 s82, s82, 0xffffff                               // 00000000459C: 8652FF52 00FFFFFF
	s_cmp_lt_u32 s82, s66                                      // 0000000045A4: BF0A4252
	s_cselect_b32 s20, s36, s60                                // 0000000045A8: 85143C24
	v_readlane_b32 s82, v3, 3                                  // 0000000045AC: D2890052 00010703
	s_and_b32 s82, s82, 0xffffff                               // 0000000045B4: 8652FF52 00FFFFFF
	s_cmp_lt_u32 s82, s66                                      // 0000000045BC: BF0A4252
	s_cselect_b32 s21, s36, s60                                // 0000000045C0: 85153C24
	s_mov_b64 exec, s[20:21]                                   // 0000000045C4: BEFE0114
	global_atomic_add_f32 v6, v53, s[8:9]                      // 0000000045C8: DD348000 00083506
	s_mov_b64 exec, s[36:37]                                   // 0000000045D0: BEFE0124
	v_mov_b32_e32 v6, v40                                      // 0000000045D4: 7E0C0328
	s_mov_b64 s[60:61], 0                                      // 0000000045D8: BEBC0180
	v_readlane_b32 s82, v3, 4                                  // 0000000045DC: D2890052 00010903
	s_and_b32 s82, s82, 0xffffff                               // 0000000045E4: 8652FF52 00FFFFFF
	s_cmp_lt_u32 s82, s66                                      // 0000000045EC: BF0A4252
	s_cselect_b32 s20, s36, s60                                // 0000000045F0: 85143C24
	v_readlane_b32 s82, v3, 5                                  // 0000000045F4: D2890052 00010B03
	s_and_b32 s82, s82, 0xffffff                               // 0000000045FC: 8652FF52 00FFFFFF
	s_cmp_lt_u32 s82, s66                                      // 000000004604: BF0A4252
	s_cselect_b32 s21, s36, s60                                // 000000004608: 85153C24
	s_mov_b64 exec, s[20:21]                                   // 00000000460C: BEFE0114
	global_atomic_add_f32 v6, v56, s[8:9]                      // 000000004610: DD348000 00083806
	s_mov_b64 exec, s[36:37]                                   // 000000004618: BEFE0124
	v_mov_b32_e32 v6, v41                                      // 00000000461C: 7E0C0329
	s_mov_b64 s[60:61], 0                                      // 000000004620: BEBC0180
	v_readlane_b32 s82, v3, 6                                  // 000000004624: D2890052 00010D03
	s_and_b32 s82, s82, 0xffffff                               // 00000000462C: 8652FF52 00FFFFFF
	s_cmp_lt_u32 s82, s66                                      // 000000004634: BF0A4252
	s_cselect_b32 s20, s36, s60                                // 000000004638: 85143C24
	v_readlane_b32 s82, v3, 7                                  // 00000000463C: D2890052 00010F03
	s_and_b32 s82, s82, 0xffffff                               // 000000004644: 8652FF52 00FFFFFF
	s_cmp_lt_u32 s82, s66                                      // 00000000464C: BF0A4252
	s_cselect_b32 s21, s36, s60                                // 000000004650: 85153C24
	s_mov_b64 exec, s[20:21]                                   // 000000004654: BEFE0114
	global_atomic_add_f32 v6, v57, s[8:9]                      // 000000004658: DD348000 00083906
	s_mov_b64 exec, s[36:37]                                   // 000000004660: BEFE0124
	ds_write_b64 v20, v[54:55]                                 // 000000004664: D89A0000 00003614
	ds_write_b64 v20, v[58:59] offset:2176                     // 00000000466C: D89A0880 00003A14
	s_waitcnt lgkmcnt(0)                                       // 000000004674: BF8CC07F
	s_barrier                                                  // 000000004678: BF8A0000
	ds_read_b32 v54, v21                                       // 00000000467C: D86C0000 36000015
	ds_read_b32 v55, v21 offset:64                             // 000000004684: D86C0040 37000015
	ds_read_b32 v58, v21 offset:2176                           // 00000000468C: D86C0880 3A000015
	ds_read_b32 v59, v21 offset:2240                           // 000000004694: D86C08C0 3B000015
	s_waitcnt lgkmcnt(0)                                       // 00000000469C: BF8CC07F
	v_mov_b32_e32 v7, 0                                        // 0000000046A0: 7E0E0280
	s_mov_b64 exec, s[36:37]                                   // 0000000046A4: BEFE0124
	v_mov_b32_e32 v6, v38                                      // 0000000046A8: 7E0C0326
	s_mov_b64 s[60:61], 0                                      // 0000000046AC: BEBC0180
	v_readlane_b32 s82, v3, 0                                  // 0000000046B0: D2890052 00010103
	s_and_b32 s82, s82, 0xffffff                               // 0000000046B8: 8652FF52 00FFFFFF
	s_cmp_lt_u32 s82, s66                                      // 0000000046C0: BF0A4252
	s_cselect_b32 s20, s36, s60                                // 0000000046C4: 85143C24
	v_readlane_b32 s82, v3, 1                                  // 0000000046C8: D2890052 00010303
	s_and_b32 s82, s82, 0xffffff                               // 0000000046D0: 8652FF52 00FFFFFF
	s_cmp_lt_u32 s82, s66                                      // 0000000046D8: BF0A4252
	s_cselect_b32 s21, s36, s60                                // 0000000046DC: 85153C24
	s_mov_b64 exec, s[20:21]                                   // 0000000046E0: BEFE0114
	global_atomic_add_f32 v6, v54, s[8:9] offset:8             // 0000000046E4: DD348008 00083606
	s_mov_b64 exec, s[36:37]                                   // 0000000046EC: BEFE0124
	v_mov_b32_e32 v6, v39                                      // 0000000046F0: 7E0C0327
	s_mov_b64 s[60:61], 0                                      // 0000000046F4: BEBC0180
	v_readlane_b32 s82, v3, 2                                  // 0000000046F8: D2890052 00010503
	s_and_b32 s82, s82, 0xffffff                               // 000000004700: 8652FF52 00FFFFFF
	s_cmp_lt_u32 s82, s66                                      // 000000004708: BF0A4252
	s_cselect_b32 s20, s36, s60                                // 00000000470C: 85143C24
	v_readlane_b32 s82, v3, 3                                  // 000000004710: D2890052 00010703
	s_and_b32 s82, s82, 0xffffff                               // 000000004718: 8652FF52 00FFFFFF
	s_cmp_lt_u32 s82, s66                                      // 000000004720: BF0A4252
	s_cselect_b32 s21, s36, s60                                // 000000004724: 85153C24
	s_mov_b64 exec, s[20:21]                                   // 000000004728: BEFE0114
	global_atomic_add_f32 v6, v55, s[8:9] offset:8             // 00000000472C: DD348008 00083706
	s_mov_b64 exec, s[36:37]                                   // 000000004734: BEFE0124
	v_mov_b32_e32 v6, v40                                      // 000000004738: 7E0C0328
	s_mov_b64 s[60:61], 0                                      // 00000000473C: BEBC0180
	v_readlane_b32 s82, v3, 4                                  // 000000004740: D2890052 00010903
	s_and_b32 s82, s82, 0xffffff                               // 000000004748: 8652FF52 00FFFFFF
	s_cmp_lt_u32 s82, s66                                      // 000000004750: BF0A4252
	s_cselect_b32 s20, s36, s60                                // 000000004754: 85143C24
	v_readlane_b32 s82, v3, 5                                  // 000000004758: D2890052 00010B03
	s_and_b32 s82, s82, 0xffffff                               // 000000004760: 8652FF52 00FFFFFF
	s_cmp_lt_u32 s82, s66                                      // 000000004768: BF0A4252
	s_cselect_b32 s21, s36, s60                                // 00000000476C: 85153C24
	s_mov_b64 exec, s[20:21]                                   // 000000004770: BEFE0114
	global_atomic_add_f32 v6, v58, s[8:9] offset:8             // 000000004774: DD348008 00083A06
	s_mov_b64 exec, s[36:37]                                   // 00000000477C: BEFE0124
	v_mov_b32_e32 v6, v41                                      // 000000004780: 7E0C0329
	s_mov_b64 s[60:61], 0                                      // 000000004784: BEBC0180
	v_readlane_b32 s82, v3, 6                                  // 000000004788: D2890052 00010D03
	s_and_b32 s82, s82, 0xffffff                               // 000000004790: 8652FF52 00FFFFFF
	s_cmp_lt_u32 s82, s66                                      // 000000004798: BF0A4252
	s_cselect_b32 s20, s36, s60                                // 00000000479C: 85143C24
	v_readlane_b32 s82, v3, 7                                  // 0000000047A0: D2890052 00010F03
	s_and_b32 s82, s82, 0xffffff                               // 0000000047A8: 8652FF52 00FFFFFF
	s_cmp_lt_u32 s82, s66                                      // 0000000047B0: BF0A4252
	s_cselect_b32 s21, s36, s60                                // 0000000047B4: 85153C24
	s_mov_b64 exec, s[20:21]                                   // 0000000047B8: BEFE0114
	global_atomic_add_f32 v6, v59, s[8:9] offset:8             // 0000000047BC: DD348008 00083B06
	s_mov_b64 exec, s[36:37]                                   // 0000000047C4: BEFE0124
	s_branch label_0D20                                        // 0000000047C8: BF8205AA

00000000000047cc <label_0776>:
	s_waitcnt vmcnt(6) lgkmcnt(0)                              // 0000000047CC: BF8C0076
	v_mfma_f32_16x16x32_fp8_fp8 v[44:47], a[32:33], a[0:1], v[44:47]// 0000000047D0: D3F3002C 1CB20120
	buffer_load_dwordx4 a[48:51], v42, s[24:27], 0 offen       // 0000000047D8: E05C1000 8086302A
	v_mfma_f32_16x16x32_fp8_fp8 v[44:47], a[34:35], a[2:3], v[44:47]// 0000000047E0: D3F3002C 1CB20522
	v_mfma_f32_16x16x32_fp8_fp8 v[44:47], a[36:37], a[4:5], v[44:47]// 0000000047E8: D3F3002C 1CB20924
	v_mfma_f32_16x16x32_fp8_fp8 v[44:47], a[38:39], a[6:7], v[44:47]// 0000000047F0: D3F3002C 1CB20D26
	v_mfma_f32_16x16x32_fp8_fp8 v[48:51], a[32:33], a[8:9], v[48:51]// 0000000047F8: D3F30030 1CC21120
	buffer_load_dwordx4 a[52:55], v42, s[24:27], 0 offen offset:1024// 000000004800: E05C1400 8086342A
	buffer_load_dword v38, s[20:23], 0 offen lds               // 000000004808: E0511000 80050026
	s_add_u32 m0, 0x100, s50                                   // 000000004810: 807C32FF 00000100
	v_mfma_f32_16x16x32_fp8_fp8 v[48:51], a[34:35], a[10:11], v[48:51]// 000000004818: D3F30030 1CC21522
	v_mfma_f32_16x16x32_fp8_fp8 v[48:51], a[36:37], a[12:13], v[48:51]// 000000004820: D3F30030 1CC21924
	buffer_load_dword v39, s[20:23], 0 offen lds               // 000000004828: E0511000 80050027
	s_add_u32 m0, 0x200, s50                                   // 000000004830: 807C32FF 00000200
	v_mfma_f32_16x16x32_fp8_fp8 v[48:51], a[38:39], a[14:15], v[48:51]// 000000004838: D3F30030 1CC21D26
	buffer_load_dword v40, s[20:23], 0 offen lds               // 000000004840: E0511000 80050028
	s_add_u32 m0, 0x300, s50                                   // 000000004848: 807C32FF 00000300
	buffer_load_dword v41, s[20:23], 0 offen lds               // 000000004850: E0511000 80050029
	s_add_u32 m0, 0, s48                                       // 000000004858: 807C3080
	s_waitcnt vmcnt(6)                                         // 00000000485C: BF8C0F76
	s_barrier                                                  // 000000004860: BF8A0000
	v_mfma_f32_16x16x32_fp8_fp8 v[52:55], a[40:41], a[0:1], v[52:55]// 000000004864: D3F30034 1CD20128
	buffer_load_dwordx4 a[32:35], v42, s[84:87], 0 offen       // 00000000486C: E05C1000 8095202A
	s_add_u32 s60, 0x180, s80                                  // 000000004874: 803C50FF 00000180
	s_cmp_lt_u32 s60, s81                                      // 00000000487C: BF0A513C
	s_cselect_b32 s57, s57, 0                                  // 000000004880: 85398039
	v_mfma_f32_16x16x32_fp8_fp8 v[52:55], a[42:43], a[2:3], v[52:55]// 000000004884: D3F30034 1CD2052A
	s_add_u32 s60, 0x100, s80                                  // 00000000488C: 803C50FF 00000100
	s_cmp_lt_u32 s60, s81                                      // 000000004894: BF0A513C
	s_cselect_b32 s58, s58, 0                                  // 000000004898: 853A803A
	v_mfma_f32_16x16x32_fp8_fp8 v[52:55], a[44:45], a[4:5], v[52:55]// 00000000489C: D3F30034 1CD2092C
	ds_read_b128 a[16:19], v2 offset:4224                      // 0000000048A4: DBFE1080 10000002
	ds_read_b128 a[20:23], v2 offset:4288                      // 0000000048AC: DBFE10C0 14000002
	s_add_u32 s60, 0x100, s80                                  // 0000000048B4: 803C50FF 00000100
	s_cmp_lt_u32 s60, s81                                      // 0000000048BC: BF0A513C
	s_cselect_b32 s83, s83, 0                                  // 0000000048C0: 85538053
	v_mfma_f32_16x16x32_fp8_fp8 v[52:55], a[46:47], a[6:7], v[52:55]// 0000000048C4: D3F30034 1CD20D2E
	s_add_u32 s24, s58, s24                                    // 0000000048CC: 8018183A
	s_addc_u32 s25, 0, s25                                     // 0000000048D0: 82191980
	v_mfma_f32_16x16x32_fp8_fp8 v[56:59], a[40:41], a[8:9], v[56:59]// 0000000048D4: D3F30038 1CE21128
	buffer_load_dwordx4 a[36:39], v42, s[84:87], 0 offen offset:1024// 0000000048DC: E05C1400 8095242A
	s_add_u32 s20, s57, s20                                    // 0000000048E4: 80141439
	s_addc_u32 s21, 0, s21                                     // 0000000048E8: 82151580
	v_mfma_f32_16x16x32_fp8_fp8 v[56:59], a[42:43], a[10:11], v[56:59]// 0000000048EC: D3F30038 1CE2152A
	s_add_u32 s84, s83, s84                                    // 0000000048F4: 80545453
	s_addc_u32 s85, 0, s85                                     // 0000000048F8: 82555580
	v_mfma_f32_16x16x32_fp8_fp8 v[56:59], a[44:45], a[12:13], v[56:59]// 0000000048FC: D3F30038 1CE2192C
	ds_read_b128 a[24:27], v2 offset:4736                      // 000000004904: DBFE1280 18000002
	ds_read_b128 a[28:31], v2 offset:4800                      // 00000000490C: DBFE12C0 1C000002
	v_mfma_f32_16x16x32_fp8_fp8 v[56:59], a[46:47], a[14:15], v[56:59]// 000000004914: D3F30038 1CE21D2E
	s_addk_i32 s80, 0x80                                       // 00000000491C: B7500080
	s_cmp_lt_i32 s80, s81                                      // 000000004920: BF045150
	s_cbranch_scc0 label_0981                                  // 000000004924: BF8401B4
	s_waitcnt vmcnt(6) lgkmcnt(0)                              // 000000004928: BF8C0076
	v_mfma_f32_16x16x32_fp8_fp8 v[44:47], a[48:49], a[16:17], v[44:47]// 00000000492C: D3F3002C 1CB22130
	buffer_load_dwordx4 a[40:43], v42, s[24:27], 0 offen       // 000000004934: E05C1000 8086282A
	v_mfma_f32_16x16x32_fp8_fp8 v[44:47], a[50:51], a[18:19], v[44:47]// 00000000493C: D3F3002C 1CB22532
	v_mfma_f32_16x16x32_fp8_fp8 v[44:47], a[52:53], a[20:21], v[44:47]// 000000004944: D3F3002C 1CB22934
	v_mfma_f32_16x16x32_fp8_fp8 v[44:47], a[54:55], a[22:23], v[44:47]// 00000000494C: D3F3002C 1CB22D36
	v_mfma_f32_16x16x32_fp8_fp8 v[48:51], a[48:49], a[24:25], v[48:51]// 000000004954: D3F30030 1CC23130
	buffer_load_dwordx4 a[44:47], v42, s[24:27], 0 offen offset:1024// 00000000495C: E05C1400 80862C2A
	buffer_load_dword v38, s[20:23], 0 offen lds               // 000000004964: E0511000 80050026
	s_add_u32 m0, 0x100, s48                                   // 00000000496C: 807C30FF 00000100
	v_mfma_f32_16x16x32_fp8_fp8 v[48:51], a[50:51], a[26:27], v[48:51]// 000000004974: D3F30030 1CC23532
	v_mfma_f32_16x16x32_fp8_fp8 v[48:51], a[52:53], a[28:29], v[48:51]// 00000000497C: D3F30030 1CC23934
	buffer_load_dword v39, s[20:23], 0 offen lds               // 000000004984: E0511000 80050027
	s_add_u32 m0, 0x200, s48                                   // 00000000498C: 807C30FF 00000200
	v_mfma_f32_16x16x32_fp8_fp8 v[48:51], a[54:55], a[30:31], v[48:51]// 000000004994: D3F30030 1CC23D36
	buffer_load_dword v40, s[20:23], 0 offen lds               // 00000000499C: E0511000 80050028
	s_add_u32 m0, 0x300, s48                                   // 0000000049A4: 807C30FF 00000300
	buffer_load_dword v41, s[20:23], 0 offen lds               // 0000000049AC: E0511000 80050029
	s_add_u32 m0, 0, s49                                       // 0000000049B4: 807C3180
	s_waitcnt vmcnt(6)                                         // 0000000049B8: BF8C0F76
	s_barrier                                                  // 0000000049BC: BF8A0000
	v_mfma_f32_16x16x32_fp8_fp8 v[52:55], a[32:33], a[16:17], v[52:55]// 0000000049C0: D3F30034 1CD22120
	buffer_load_dwordx4 a[48:51], v42, s[84:87], 0 offen       // 0000000049C8: E05C1000 8095302A
	s_add_u32 s60, 0x180, s80                                  // 0000000049D0: 803C50FF 00000180
	s_cmp_lt_u32 s60, s81                                      // 0000000049D8: BF0A513C
	s_cselect_b32 s57, s57, 0                                  // 0000000049DC: 85398039
	v_mfma_f32_16x16x32_fp8_fp8 v[52:55], a[34:35], a[18:19], v[52:55]// 0000000049E0: D3F30034 1CD22522
	s_add_u32 s60, 0x100, s80                                  // 0000000049E8: 803C50FF 00000100
	s_cmp_lt_u32 s60, s81                                      // 0000000049F0: BF0A513C
	s_cselect_b32 s58, s58, 0                                  // 0000000049F4: 853A803A
	v_mfma_f32_16x16x32_fp8_fp8 v[52:55], a[36:37], a[20:21], v[52:55]// 0000000049F8: D3F30034 1CD22924
	ds_read_b128 a[0:3], v2 offset:8448                        // 000000004A00: DBFE2100 00000002
	ds_read_b128 a[4:7], v2 offset:8512                        // 000000004A08: DBFE2140 04000002
	s_add_u32 s60, 0x100, s80                                  // 000000004A10: 803C50FF 00000100
	s_cmp_lt_u32 s60, s81                                      // 000000004A18: BF0A513C
	s_cselect_b32 s83, s83, 0                                  // 000000004A1C: 85538053
	v_mfma_f32_16x16x32_fp8_fp8 v[52:55], a[38:39], a[22:23], v[52:55]// 000000004A20: D3F30034 1CD22D26
	s_add_u32 s24, s58, s24                                    // 000000004A28: 8018183A
	s_addc_u32 s25, 0, s25                                     // 000000004A2C: 82191980
	v_mfma_f32_16x16x32_fp8_fp8 v[56:59], a[32:33], a[24:25], v[56:59]// 000000004A30: D3F30038 1CE23120
	buffer_load_dwordx4 a[52:55], v42, s[84:87], 0 offen offset:1024// 000000004A38: E05C1400 8095342A
	s_add_u32 s20, s57, s20                                    // 000000004A40: 80141439
	s_addc_u32 s21, 0, s21                                     // 000000004A44: 82151580
	v_mfma_f32_16x16x32_fp8_fp8 v[56:59], a[34:35], a[26:27], v[56:59]// 000000004A48: D3F30038 1CE23522
	s_add_u32 s84, s83, s84                                    // 000000004A50: 80545453
	s_addc_u32 s85, 0, s85                                     // 000000004A54: 82555580
	v_mfma_f32_16x16x32_fp8_fp8 v[56:59], a[36:37], a[28:29], v[56:59]// 000000004A58: D3F30038 1CE23924
	ds_read_b128 a[8:11], v2 offset:8960                       // 000000004A60: DBFE2300 08000002
	ds_read_b128 a[12:15], v2 offset:9024                      // 000000004A68: DBFE2340 0C000002
	v_mfma_f32_16x16x32_fp8_fp8 v[56:59], a[38:39], a[30:31], v[56:59]// 000000004A70: D3F30038 1CE23D26
	s_addk_i32 s80, 0x80                                       // 000000004A78: B7500080
	s_cmp_lt_i32 s80, s81                                      // 000000004A7C: BF045150
	s_cbranch_scc0 label_0981                                  // 000000004A80: BF84015D
	s_waitcnt vmcnt(6) lgkmcnt(0)                              // 000000004A84: BF8C0076
	v_mfma_f32_16x16x32_fp8_fp8 v[44:47], a[40:41], a[0:1], v[44:47]// 000000004A88: D3F3002C 1CB20128
	buffer_load_dwordx4 a[32:35], v42, s[24:27], 0 offen       // 000000004A90: E05C1000 8086202A
	v_mfma_f32_16x16x32_fp8_fp8 v[44:47], a[42:43], a[2:3], v[44:47]// 000000004A98: D3F3002C 1CB2052A
	v_mfma_f32_16x16x32_fp8_fp8 v[44:47], a[44:45], a[4:5], v[44:47]// 000000004AA0: D3F3002C 1CB2092C
	v_mfma_f32_16x16x32_fp8_fp8 v[44:47], a[46:47], a[6:7], v[44:47]// 000000004AA8: D3F3002C 1CB20D2E
	v_mfma_f32_16x16x32_fp8_fp8 v[48:51], a[40:41], a[8:9], v[48:51]// 000000004AB0: D3F30030 1CC21128
	buffer_load_dwordx4 a[36:39], v42, s[24:27], 0 offen offset:1024// 000000004AB8: E05C1400 8086242A
	buffer_load_dword v38, s[20:23], 0 offen lds               // 000000004AC0: E0511000 80050026
	s_add_u32 m0, 0x100, s49                                   // 000000004AC8: 807C31FF 00000100
	v_mfma_f32_16x16x32_fp8_fp8 v[48:51], a[42:43], a[10:11], v[48:51]// 000000004AD0: D3F30030 1CC2152A
	v_mfma_f32_16x16x32_fp8_fp8 v[48:51], a[44:45], a[12:13], v[48:51]// 000000004AD8: D3F30030 1CC2192C
	buffer_load_dword v39, s[20:23], 0 offen lds               // 000000004AE0: E0511000 80050027
	s_add_u32 m0, 0x200, s49                                   // 000000004AE8: 807C31FF 00000200
	v_mfma_f32_16x16x32_fp8_fp8 v[48:51], a[46:47], a[14:15], v[48:51]// 000000004AF0: D3F30030 1CC21D2E
	buffer_load_dword v40, s[20:23], 0 offen lds               // 000000004AF8: E0511000 80050028
	s_add_u32 m0, 0x300, s49                                   // 000000004B00: 807C31FF 00000300
	buffer_load_dword v41, s[20:23], 0 offen lds               // 000000004B08: E0511000 80050029
	s_add_u32 m0, 0, s50                                       // 000000004B10: 807C3280
	s_waitcnt vmcnt(6)                                         // 000000004B14: BF8C0F76
	s_barrier                                                  // 000000004B18: BF8A0000
	v_mfma_f32_16x16x32_fp8_fp8 v[52:55], a[48:49], a[0:1], v[52:55]// 000000004B1C: D3F30034 1CD20130
	buffer_load_dwordx4 a[40:43], v42, s[84:87], 0 offen       // 000000004B24: E05C1000 8095282A
	s_add_u32 s60, 0x180, s80                                  // 000000004B2C: 803C50FF 00000180
	s_cmp_lt_u32 s60, s81                                      // 000000004B34: BF0A513C
	s_cselect_b32 s57, s57, 0                                  // 000000004B38: 85398039
	v_mfma_f32_16x16x32_fp8_fp8 v[52:55], a[50:51], a[2:3], v[52:55]// 000000004B3C: D3F30034 1CD20532
	s_add_u32 s60, 0x100, s80                                  // 000000004B44: 803C50FF 00000100
	s_cmp_lt_u32 s60, s81                                      // 000000004B4C: BF0A513C
	s_cselect_b32 s58, s58, 0                                  // 000000004B50: 853A803A
	v_mfma_f32_16x16x32_fp8_fp8 v[52:55], a[52:53], a[4:5], v[52:55]// 000000004B54: D3F30034 1CD20934
	ds_read_b128 a[16:19], v2                                  // 000000004B5C: DBFE0000 10000002
	ds_read_b128 a[20:23], v2 offset:64                        // 000000004B64: DBFE0040 14000002
	s_add_u32 s60, 0x100, s80                                  // 000000004B6C: 803C50FF 00000100
	s_cmp_lt_u32 s60, s81                                      // 000000004B74: BF0A513C
	s_cselect_b32 s83, s83, 0                                  // 000000004B78: 85538053
	v_mfma_f32_16x16x32_fp8_fp8 v[52:55], a[54:55], a[6:7], v[52:55]// 000000004B7C: D3F30034 1CD20D36
	s_add_u32 s24, s58, s24                                    // 000000004B84: 8018183A
	s_addc_u32 s25, 0, s25                                     // 000000004B88: 82191980
	v_mfma_f32_16x16x32_fp8_fp8 v[56:59], a[48:49], a[8:9], v[56:59]// 000000004B8C: D3F30038 1CE21130
	buffer_load_dwordx4 a[44:47], v42, s[84:87], 0 offen offset:1024// 000000004B94: E05C1400 80952C2A
	s_add_u32 s20, s57, s20                                    // 000000004B9C: 80141439
	s_addc_u32 s21, 0, s21                                     // 000000004BA0: 82151580
	v_mfma_f32_16x16x32_fp8_fp8 v[56:59], a[50:51], a[10:11], v[56:59]// 000000004BA4: D3F30038 1CE21532
	s_add_u32 s84, s83, s84                                    // 000000004BAC: 80545453
	s_addc_u32 s85, 0, s85                                     // 000000004BB0: 82555580
	v_mfma_f32_16x16x32_fp8_fp8 v[56:59], a[52:53], a[12:13], v[56:59]// 000000004BB4: D3F30038 1CE21934
	ds_read_b128 a[24:27], v2 offset:512                       // 000000004BBC: DBFE0200 18000002
	ds_read_b128 a[28:31], v2 offset:576                       // 000000004BC4: DBFE0240 1C000002
	v_mfma_f32_16x16x32_fp8_fp8 v[56:59], a[54:55], a[14:15], v[56:59]// 000000004BCC: D3F30038 1CE21D36
	s_addk_i32 s80, 0x80                                       // 000000004BD4: B7500080
	s_cmp_lt_i32 s80, s81                                      // 000000004BD8: BF045150
	s_cbranch_scc0 label_0981                                  // 000000004BDC: BF840106
	s_waitcnt vmcnt(6) lgkmcnt(0)                              // 000000004BE0: BF8C0076
	v_mfma_f32_16x16x32_fp8_fp8 v[44:47], a[32:33], a[16:17], v[44:47]// 000000004BE4: D3F3002C 1CB22120
	buffer_load_dwordx4 a[48:51], v42, s[24:27], 0 offen       // 000000004BEC: E05C1000 8086302A
	v_mfma_f32_16x16x32_fp8_fp8 v[44:47], a[34:35], a[18:19], v[44:47]// 000000004BF4: D3F3002C 1CB22522
	v_mfma_f32_16x16x32_fp8_fp8 v[44:47], a[36:37], a[20:21], v[44:47]// 000000004BFC: D3F3002C 1CB22924
	v_mfma_f32_16x16x32_fp8_fp8 v[44:47], a[38:39], a[22:23], v[44:47]// 000000004C04: D3F3002C 1CB22D26
	v_mfma_f32_16x16x32_fp8_fp8 v[48:51], a[32:33], a[24:25], v[48:51]// 000000004C0C: D3F30030 1CC23120
	buffer_load_dwordx4 a[52:55], v42, s[24:27], 0 offen offset:1024// 000000004C14: E05C1400 8086342A
	buffer_load_dword v38, s[20:23], 0 offen lds               // 000000004C1C: E0511000 80050026
	s_add_u32 m0, 0x100, s50                                   // 000000004C24: 807C32FF 00000100
	v_mfma_f32_16x16x32_fp8_fp8 v[48:51], a[34:35], a[26:27], v[48:51]// 000000004C2C: D3F30030 1CC23522
	v_mfma_f32_16x16x32_fp8_fp8 v[48:51], a[36:37], a[28:29], v[48:51]// 000000004C34: D3F30030 1CC23924
	buffer_load_dword v39, s[20:23], 0 offen lds               // 000000004C3C: E0511000 80050027
	s_add_u32 m0, 0x200, s50                                   // 000000004C44: 807C32FF 00000200
	v_mfma_f32_16x16x32_fp8_fp8 v[48:51], a[38:39], a[30:31], v[48:51]// 000000004C4C: D3F30030 1CC23D26
	buffer_load_dword v40, s[20:23], 0 offen lds               // 000000004C54: E0511000 80050028
	s_add_u32 m0, 0x300, s50                                   // 000000004C5C: 807C32FF 00000300
	buffer_load_dword v41, s[20:23], 0 offen lds               // 000000004C64: E0511000 80050029
	s_add_u32 m0, 0, s48                                       // 000000004C6C: 807C3080
	s_waitcnt vmcnt(6)                                         // 000000004C70: BF8C0F76
	s_barrier                                                  // 000000004C74: BF8A0000
	v_mfma_f32_16x16x32_fp8_fp8 v[52:55], a[40:41], a[16:17], v[52:55]// 000000004C78: D3F30034 1CD22128
	buffer_load_dwordx4 a[32:35], v42, s[84:87], 0 offen       // 000000004C80: E05C1000 8095202A
	s_add_u32 s60, 0x180, s80                                  // 000000004C88: 803C50FF 00000180
	s_cmp_lt_u32 s60, s81                                      // 000000004C90: BF0A513C
	s_cselect_b32 s57, s57, 0                                  // 000000004C94: 85398039
	v_mfma_f32_16x16x32_fp8_fp8 v[52:55], a[42:43], a[18:19], v[52:55]// 000000004C98: D3F30034 1CD2252A
	s_add_u32 s60, 0x100, s80                                  // 000000004CA0: 803C50FF 00000100
	s_cmp_lt_u32 s60, s81                                      // 000000004CA8: BF0A513C
	s_cselect_b32 s58, s58, 0                                  // 000000004CAC: 853A803A
	v_mfma_f32_16x16x32_fp8_fp8 v[52:55], a[44:45], a[20:21], v[52:55]// 000000004CB0: D3F30034 1CD2292C
	ds_read_b128 a[0:3], v2 offset:4224                        // 000000004CB8: DBFE1080 00000002
	ds_read_b128 a[4:7], v2 offset:4288                        // 000000004CC0: DBFE10C0 04000002
	s_add_u32 s60, 0x100, s80                                  // 000000004CC8: 803C50FF 00000100
	s_cmp_lt_u32 s60, s81                                      // 000000004CD0: BF0A513C
	s_cselect_b32 s83, s83, 0                                  // 000000004CD4: 85538053
	v_mfma_f32_16x16x32_fp8_fp8 v[52:55], a[46:47], a[22:23], v[52:55]// 000000004CD8: D3F30034 1CD22D2E
	s_add_u32 s24, s58, s24                                    // 000000004CE0: 8018183A
	s_addc_u32 s25, 0, s25                                     // 000000004CE4: 82191980
	v_mfma_f32_16x16x32_fp8_fp8 v[56:59], a[40:41], a[24:25], v[56:59]// 000000004CE8: D3F30038 1CE23128
	buffer_load_dwordx4 a[36:39], v42, s[84:87], 0 offen offset:1024// 000000004CF0: E05C1400 8095242A
	s_add_u32 s20, s57, s20                                    // 000000004CF8: 80141439
	s_addc_u32 s21, 0, s21                                     // 000000004CFC: 82151580
	v_mfma_f32_16x16x32_fp8_fp8 v[56:59], a[42:43], a[26:27], v[56:59]// 000000004D00: D3F30038 1CE2352A
	s_add_u32 s84, s83, s84                                    // 000000004D08: 80545453
	s_addc_u32 s85, 0, s85                                     // 000000004D0C: 82555580
	v_mfma_f32_16x16x32_fp8_fp8 v[56:59], a[44:45], a[28:29], v[56:59]// 000000004D10: D3F30038 1CE2392C
	ds_read_b128 a[8:11], v2 offset:4736                       // 000000004D18: DBFE1280 08000002
	ds_read_b128 a[12:15], v2 offset:4800                      // 000000004D20: DBFE12C0 0C000002
	v_mfma_f32_16x16x32_fp8_fp8 v[56:59], a[46:47], a[30:31], v[56:59]// 000000004D28: D3F30038 1CE23D2E
	s_addk_i32 s80, 0x80                                       // 000000004D30: B7500080
	s_cmp_lt_i32 s80, s81                                      // 000000004D34: BF045150
	s_cbranch_scc0 label_0981                                  // 000000004D38: BF8400AF
	s_waitcnt vmcnt(6) lgkmcnt(0)                              // 000000004D3C: BF8C0076
	v_mfma_f32_16x16x32_fp8_fp8 v[44:47], a[48:49], a[0:1], v[44:47]// 000000004D40: D3F3002C 1CB20130
	buffer_load_dwordx4 a[40:43], v42, s[24:27], 0 offen       // 000000004D48: E05C1000 8086282A
	v_mfma_f32_16x16x32_fp8_fp8 v[44:47], a[50:51], a[2:3], v[44:47]// 000000004D50: D3F3002C 1CB20532
	v_mfma_f32_16x16x32_fp8_fp8 v[44:47], a[52:53], a[4:5], v[44:47]// 000000004D58: D3F3002C 1CB20934
	v_mfma_f32_16x16x32_fp8_fp8 v[44:47], a[54:55], a[6:7], v[44:47]// 000000004D60: D3F3002C 1CB20D36
	v_mfma_f32_16x16x32_fp8_fp8 v[48:51], a[48:49], a[8:9], v[48:51]// 000000004D68: D3F30030 1CC21130
	buffer_load_dwordx4 a[44:47], v42, s[24:27], 0 offen offset:1024// 000000004D70: E05C1400 80862C2A
	buffer_load_dword v38, s[20:23], 0 offen lds               // 000000004D78: E0511000 80050026
	s_add_u32 m0, 0x100, s48                                   // 000000004D80: 807C30FF 00000100
	v_mfma_f32_16x16x32_fp8_fp8 v[48:51], a[50:51], a[10:11], v[48:51]// 000000004D88: D3F30030 1CC21532
	v_mfma_f32_16x16x32_fp8_fp8 v[48:51], a[52:53], a[12:13], v[48:51]// 000000004D90: D3F30030 1CC21934
	buffer_load_dword v39, s[20:23], 0 offen lds               // 000000004D98: E0511000 80050027
	s_add_u32 m0, 0x200, s48                                   // 000000004DA0: 807C30FF 00000200
	v_mfma_f32_16x16x32_fp8_fp8 v[48:51], a[54:55], a[14:15], v[48:51]// 000000004DA8: D3F30030 1CC21D36
	buffer_load_dword v40, s[20:23], 0 offen lds               // 000000004DB0: E0511000 80050028
	s_add_u32 m0, 0x300, s48                                   // 000000004DB8: 807C30FF 00000300
	buffer_load_dword v41, s[20:23], 0 offen lds               // 000000004DC0: E0511000 80050029
	s_add_u32 m0, 0, s49                                       // 000000004DC8: 807C3180
	s_waitcnt vmcnt(6)                                         // 000000004DCC: BF8C0F76
	s_barrier                                                  // 000000004DD0: BF8A0000
	v_mfma_f32_16x16x32_fp8_fp8 v[52:55], a[32:33], a[0:1], v[52:55]// 000000004DD4: D3F30034 1CD20120
	buffer_load_dwordx4 a[48:51], v42, s[84:87], 0 offen       // 000000004DDC: E05C1000 8095302A
	s_add_u32 s60, 0x180, s80                                  // 000000004DE4: 803C50FF 00000180
	s_cmp_lt_u32 s60, s81                                      // 000000004DEC: BF0A513C
	s_cselect_b32 s57, s57, 0                                  // 000000004DF0: 85398039
	v_mfma_f32_16x16x32_fp8_fp8 v[52:55], a[34:35], a[2:3], v[52:55]// 000000004DF4: D3F30034 1CD20522
	s_add_u32 s60, 0x100, s80                                  // 000000004DFC: 803C50FF 00000100
	s_cmp_lt_u32 s60, s81                                      // 000000004E04: BF0A513C
	s_cselect_b32 s58, s58, 0                                  // 000000004E08: 853A803A
	v_mfma_f32_16x16x32_fp8_fp8 v[52:55], a[36:37], a[4:5], v[52:55]// 000000004E0C: D3F30034 1CD20924
	ds_read_b128 a[16:19], v2 offset:8448                      // 000000004E14: DBFE2100 10000002
	ds_read_b128 a[20:23], v2 offset:8512                      // 000000004E1C: DBFE2140 14000002
	s_add_u32 s60, 0x100, s80                                  // 000000004E24: 803C50FF 00000100
	s_cmp_lt_u32 s60, s81                                      // 000000004E2C: BF0A513C
	s_cselect_b32 s83, s83, 0                                  // 000000004E30: 85538053
	v_mfma_f32_16x16x32_fp8_fp8 v[52:55], a[38:39], a[6:7], v[52:55]// 000000004E34: D3F30034 1CD20D26
	s_add_u32 s24, s58, s24                                    // 000000004E3C: 8018183A
	s_addc_u32 s25, 0, s25                                     // 000000004E40: 82191980
	v_mfma_f32_16x16x32_fp8_fp8 v[56:59], a[32:33], a[8:9], v[56:59]// 000000004E44: D3F30038 1CE21120
	buffer_load_dwordx4 a[52:55], v42, s[84:87], 0 offen offset:1024// 000000004E4C: E05C1400 8095342A
	s_add_u32 s20, s57, s20                                    // 000000004E54: 80141439
	s_addc_u32 s21, 0, s21                                     // 000000004E58: 82151580
	v_mfma_f32_16x16x32_fp8_fp8 v[56:59], a[34:35], a[10:11], v[56:59]// 000000004E5C: D3F30038 1CE21522
	s_add_u32 s84, s83, s84                                    // 000000004E64: 80545453
	s_addc_u32 s85, 0, s85                                     // 000000004E68: 82555580
	v_mfma_f32_16x16x32_fp8_fp8 v[56:59], a[36:37], a[12:13], v[56:59]// 000000004E6C: D3F30038 1CE21924
	ds_read_b128 a[24:27], v2 offset:8960                      // 000000004E74: DBFE2300 18000002
	ds_read_b128 a[28:31], v2 offset:9024                      // 000000004E7C: DBFE2340 1C000002
	v_mfma_f32_16x16x32_fp8_fp8 v[56:59], a[38:39], a[14:15], v[56:59]// 000000004E84: D3F30038 1CE21D26
	s_addk_i32 s80, 0x80                                       // 000000004E8C: B7500080
	s_cmp_lt_i32 s80, s81                                      // 000000004E90: BF045150
	s_cbranch_scc0 label_0981                                  // 000000004E94: BF840058
	s_waitcnt vmcnt(6) lgkmcnt(0)                              // 000000004E98: BF8C0076
	v_mfma_f32_16x16x32_fp8_fp8 v[44:47], a[40:41], a[16:17], v[44:47]// 000000004E9C: D3F3002C 1CB22128
	buffer_load_dwordx4 a[32:35], v42, s[24:27], 0 offen       // 000000004EA4: E05C1000 8086202A
	v_mfma_f32_16x16x32_fp8_fp8 v[44:47], a[42:43], a[18:19], v[44:47]// 000000004EAC: D3F3002C 1CB2252A
	v_mfma_f32_16x16x32_fp8_fp8 v[44:47], a[44:45], a[20:21], v[44:47]// 000000004EB4: D3F3002C 1CB2292C
	v_mfma_f32_16x16x32_fp8_fp8 v[44:47], a[46:47], a[22:23], v[44:47]// 000000004EBC: D3F3002C 1CB22D2E
	v_mfma_f32_16x16x32_fp8_fp8 v[48:51], a[40:41], a[24:25], v[48:51]// 000000004EC4: D3F30030 1CC23128
	buffer_load_dwordx4 a[36:39], v42, s[24:27], 0 offen offset:1024// 000000004ECC: E05C1400 8086242A
	buffer_load_dword v38, s[20:23], 0 offen lds               // 000000004ED4: E0511000 80050026
	s_add_u32 m0, 0x100, s49                                   // 000000004EDC: 807C31FF 00000100
	v_mfma_f32_16x16x32_fp8_fp8 v[48:51], a[42:43], a[26:27], v[48:51]// 000000004EE4: D3F30030 1CC2352A
	v_mfma_f32_16x16x32_fp8_fp8 v[48:51], a[44:45], a[28:29], v[48:51]// 000000004EEC: D3F30030 1CC2392C
	buffer_load_dword v39, s[20:23], 0 offen lds               // 000000004EF4: E0511000 80050027
	s_add_u32 m0, 0x200, s49                                   // 000000004EFC: 807C31FF 00000200
	v_mfma_f32_16x16x32_fp8_fp8 v[48:51], a[46:47], a[30:31], v[48:51]// 000000004F04: D3F30030 1CC23D2E
	buffer_load_dword v40, s[20:23], 0 offen lds               // 000000004F0C: E0511000 80050028
	s_add_u32 m0, 0x300, s49                                   // 000000004F14: 807C31FF 00000300
	buffer_load_dword v41, s[20:23], 0 offen lds               // 000000004F1C: E0511000 80050029
	s_add_u32 m0, 0, s50                                       // 000000004F24: 807C3280
	s_waitcnt vmcnt(6)                                         // 000000004F28: BF8C0F76
	s_barrier                                                  // 000000004F2C: BF8A0000
	v_mfma_f32_16x16x32_fp8_fp8 v[52:55], a[48:49], a[16:17], v[52:55]// 000000004F30: D3F30034 1CD22130
	buffer_load_dwordx4 a[40:43], v42, s[84:87], 0 offen       // 000000004F38: E05C1000 8095282A
	s_add_u32 s60, 0x180, s80                                  // 000000004F40: 803C50FF 00000180
	s_cmp_lt_u32 s60, s81                                      // 000000004F48: BF0A513C
	s_cselect_b32 s57, s57, 0                                  // 000000004F4C: 85398039
	v_mfma_f32_16x16x32_fp8_fp8 v[52:55], a[50:51], a[18:19], v[52:55]// 000000004F50: D3F30034 1CD22532
	s_add_u32 s60, 0x100, s80                                  // 000000004F58: 803C50FF 00000100
	s_cmp_lt_u32 s60, s81                                      // 000000004F60: BF0A513C
	s_cselect_b32 s58, s58, 0                                  // 000000004F64: 853A803A
	v_mfma_f32_16x16x32_fp8_fp8 v[52:55], a[52:53], a[20:21], v[52:55]// 000000004F68: D3F30034 1CD22934
	ds_read_b128 a[0:3], v2                                    // 000000004F70: DBFE0000 00000002
	ds_read_b128 a[4:7], v2 offset:64                          // 000000004F78: DBFE0040 04000002
	s_add_u32 s60, 0x100, s80                                  // 000000004F80: 803C50FF 00000100
	s_cmp_lt_u32 s60, s81                                      // 000000004F88: BF0A513C
	s_cselect_b32 s83, s83, 0                                  // 000000004F8C: 85538053
	v_mfma_f32_16x16x32_fp8_fp8 v[52:55], a[54:55], a[22:23], v[52:55]// 000000004F90: D3F30034 1CD22D36
	s_add_u32 s24, s58, s24                                    // 000000004F98: 8018183A
	s_addc_u32 s25, 0, s25                                     // 000000004F9C: 82191980
	v_mfma_f32_16x16x32_fp8_fp8 v[56:59], a[48:49], a[24:25], v[56:59]// 000000004FA0: D3F30038 1CE23130
	buffer_load_dwordx4 a[44:47], v42, s[84:87], 0 offen offset:1024// 000000004FA8: E05C1400 80952C2A
	s_add_u32 s20, s57, s20                                    // 000000004FB0: 80141439
	s_addc_u32 s21, 0, s21                                     // 000000004FB4: 82151580
	v_mfma_f32_16x16x32_fp8_fp8 v[56:59], a[50:51], a[26:27], v[56:59]// 000000004FB8: D3F30038 1CE23532
	s_add_u32 s84, s83, s84                                    // 000000004FC0: 80545453
	s_addc_u32 s85, 0, s85                                     // 000000004FC4: 82555580
	v_mfma_f32_16x16x32_fp8_fp8 v[56:59], a[52:53], a[28:29], v[56:59]// 000000004FC8: D3F30038 1CE23934
	ds_read_b128 a[8:11], v2 offset:512                        // 000000004FD0: DBFE0200 08000002
	ds_read_b128 a[12:15], v2 offset:576                       // 000000004FD8: DBFE0240 0C000002
	v_mfma_f32_16x16x32_fp8_fp8 v[56:59], a[54:55], a[30:31], v[56:59]// 000000004FE0: D3F30038 1CE23D36
	s_addk_i32 s80, 0x80                                       // 000000004FE8: B7500080
	s_cmp_lt_i32 s80, s81                                      // 000000004FEC: BF045150
	s_cbranch_scc0 label_0981                                  // 000000004FF0: BF840001
	s_branch label_0776                                        // 000000004FF4: BF82FDF5

0000000000004ff8 <label_0981>:
	v_mul_f32_dpp v44, v24, v44 row_newbcast:0 row_mask:0xf bank_mask:0xf// 000000004FF8: 0A5858FA FF015018
	v_mul_f32_dpp v45, v24, v45 row_newbcast:1 row_mask:0xf bank_mask:0xf// 000000005000: 0A5A5AFA FF015118
	v_mul_f32_dpp v46, v24, v46 row_newbcast:2 row_mask:0xf bank_mask:0xf// 000000005008: 0A5C5CFA FF015218
	v_mul_f32_dpp v47, v24, v47 row_newbcast:3 row_mask:0xf bank_mask:0xf// 000000005010: 0A5E5EFA FF015318
	v_mul_f32_dpp v48, v24, v48 row_newbcast:0 row_mask:0xf bank_mask:0xf// 000000005018: 0A6060FA FF015018
	v_mul_f32_dpp v49, v24, v49 row_newbcast:1 row_mask:0xf bank_mask:0xf// 000000005020: 0A6262FA FF015118
	v_mul_f32_dpp v50, v24, v50 row_newbcast:2 row_mask:0xf bank_mask:0xf// 000000005028: 0A6464FA FF015218
	v_mul_f32_dpp v51, v24, v51 row_newbcast:3 row_mask:0xf bank_mask:0xf// 000000005030: 0A6666FA FF015318
	v_mul_f32_dpp v52, v27, v52 row_newbcast:0 row_mask:0xf bank_mask:0xf// 000000005038: 0A6868FA FF01501B
	v_mul_f32_dpp v53, v27, v53 row_newbcast:1 row_mask:0xf bank_mask:0xf// 000000005040: 0A6A6AFA FF01511B
	v_mul_f32_dpp v54, v27, v54 row_newbcast:2 row_mask:0xf bank_mask:0xf// 000000005048: 0A6C6CFA FF01521B
	v_mul_f32_dpp v55, v27, v55 row_newbcast:3 row_mask:0xf bank_mask:0xf// 000000005050: 0A6E6EFA FF01531B
	v_mul_f32_dpp v56, v27, v56 row_newbcast:0 row_mask:0xf bank_mask:0xf// 000000005058: 0A7070FA FF01501B
	v_mul_f32_dpp v57, v27, v57 row_newbcast:1 row_mask:0xf bank_mask:0xf// 000000005060: 0A7272FA FF01511B
	v_mul_f32_dpp v58, v27, v58 row_newbcast:2 row_mask:0xf bank_mask:0xf// 000000005068: 0A7474FA FF01521B
	v_mul_f32_dpp v59, v27, v59 row_newbcast:3 row_mask:0xf bank_mask:0xf// 000000005070: 0A7676FA FF01531B
	v_mul_f32_e32 v32, v32, v60                                // 000000005078: 0A407920
	v_mov_b32_e32 v4, v32                                      // 00000000507C: 7E080320
	v_mov_b32_e32 v5, v4                                       // 000000005080: 7E0A0304
	v_pk_mul_f32 v[44:45], v[4:5], v[44:45]                    // 000000005084: D3B1402C 18025904
	v_pk_mul_f32 v[52:53], v[4:5], v[52:53]                    // 00000000508C: D3B14034 18026904
	v_pk_mul_f32 v[46:47], v[4:5], v[46:47]                    // 000000005094: D3B1402E 18025D04
	v_pk_mul_f32 v[54:55], v[4:5], v[54:55]                    // 00000000509C: D3B14036 18026D04
	v_mul_f32_e32 v33, v33, v61                                // 0000000050A4: 0A427B21
	v_mov_b32_e32 v4, v33                                      // 0000000050A8: 7E080321
	v_mov_b32_e32 v5, v4                                       // 0000000050AC: 7E0A0304
	v_pk_mul_f32 v[48:49], v[4:5], v[48:49]                    // 0000000050B0: D3B14030 18026104
	v_pk_mul_f32 v[56:57], v[4:5], v[56:57]                    // 0000000050B8: D3B14038 18027104
	v_pk_mul_f32 v[50:51], v[4:5], v[50:51]                    // 0000000050C0: D3B14032 18026504
	v_pk_mul_f32 v[58:59], v[4:5], v[58:59]                    // 0000000050C8: D3B1403A 18027504
	s_cmp_eq_u32 s88, 0                                        // 0000000050D0: BF068058
	s_cbranch_scc0 label_0B4E                                  // 0000000050D4: BF840195
	s_cmp_eq_u32 s89, 0                                        // 0000000050D8: BF068059
	s_cbranch_scc1 label_0A10                                  // 0000000050DC: BF850055
	v_mov_b32_e32 v8, v1                                       // 0000000050E0: 7E100301
	v_mov_b32_e32 v9, v1                                       // 0000000050E4: 7E120301
	s_mov_b32 s60, s6                                          // 0000000050E8: BEBC0006
	s_mov_b32 s61, s6                                          // 0000000050EC: BEBD0006
	v_pk_mul_f32 v[4:5], v[44:45], v[44:45]                    // 0000000050F0: D3B14004 1802592C
	v_pk_mul_f32 v[6:7], v[46:47], v[46:47]                    // 0000000050F8: D3B14006 18025D2E
	v_pk_fma_f32 v[4:5], v[4:5], s[78:79], v[8:9]              // 000000005100: D3B04004 1C209D04
	v_pk_fma_f32 v[6:7], v[6:7], s[78:79], v[8:9]              // 000000005108: D3B04006 1C209D06
	v_pk_mul_f32 v[4:5], v[4:5], v[44:45]                      // 000000005110: D3B14004 18025904
	v_pk_mul_f32 v[6:7], v[6:7], v[46:47]                      // 000000005118: D3B14006 18025D06
	v_pk_mul_f32 v[4:5], v[4:5], s[60:61]                      // 000000005120: D3B14004 18007904
	v_pk_mul_f32 v[6:7], v[6:7], s[60:61]                      // 000000005128: D3B14006 18007906
	v_exp_f32_e32 v4, v4                                       // 000000005130: 7E084104
	v_exp_f32_e32 v5, v5                                       // 000000005134: 7E0A4105
	v_exp_f32_e32 v6, v6                                       // 000000005138: 7E0C4106
	v_exp_f32_e32 v7, v7                                       // 00000000513C: 7E0E4107
	v_add_f32_e64 v4, v4, 1.0                                  // 000000005140: D1010004 0001E504
	v_add_f32_e64 v5, v5, 1.0                                  // 000000005148: D1010005 0001E505
	v_add_f32_e64 v6, v6, 1.0                                  // 000000005150: D1010006 0001E506
	v_add_f32_e64 v7, v7, 1.0                                  // 000000005158: D1010007 0001E507
	v_rcp_f32_e32 v4, v4                                       // 000000005160: 7E084504
	v_rcp_f32_e32 v5, v5                                       // 000000005164: 7E0A4505
	v_rcp_f32_e32 v6, v6                                       // 000000005168: 7E0C4506
	v_rcp_f32_e32 v7, v7                                       // 00000000516C: 7E0E4507
	v_mul_f32_e32 v44, v44, v4                                 // 000000005170: 0A58092C
	v_mul_f32_e32 v45, v45, v5                                 // 000000005174: 0A5A0B2D
	v_mul_f32_e32 v46, v46, v6                                 // 000000005178: 0A5C0D2E
	v_mul_f32_e32 v47, v47, v7                                 // 00000000517C: 0A5E0F2F
	v_mul_f32_e32 v44, v44, v52                                // 000000005180: 0A58692C
	v_mul_f32_e32 v45, v45, v53                                // 000000005184: 0A5A6B2D
	v_mul_f32_e32 v46, v46, v54                                // 000000005188: 0A5C6D2E
	v_mul_f32_e32 v47, v47, v55                                // 00000000518C: 0A5E6F2F
	v_pk_mul_f32 v[4:5], v[48:49], v[48:49]                    // 000000005190: D3B14004 18026130
	v_pk_mul_f32 v[6:7], v[50:51], v[50:51]                    // 000000005198: D3B14006 18026532
	v_pk_fma_f32 v[4:5], v[4:5], s[78:79], v[8:9]              // 0000000051A0: D3B04004 1C209D04
	v_pk_fma_f32 v[6:7], v[6:7], s[78:79], v[8:9]              // 0000000051A8: D3B04006 1C209D06
	v_pk_mul_f32 v[4:5], v[4:5], v[48:49]                      // 0000000051B0: D3B14004 18026104
	v_pk_mul_f32 v[6:7], v[6:7], v[50:51]                      // 0000000051B8: D3B14006 18026506
	v_pk_mul_f32 v[4:5], v[4:5], s[60:61]                      // 0000000051C0: D3B14004 18007904
	v_pk_mul_f32 v[6:7], v[6:7], s[60:61]                      // 0000000051C8: D3B14006 18007906
	v_exp_f32_e32 v4, v4                                       // 0000000051D0: 7E084104
	v_exp_f32_e32 v5, v5                                       // 0000000051D4: 7E0A4105
	v_exp_f32_e32 v6, v6                                       // 0000000051D8: 7E0C4106
	v_exp_f32_e32 v7, v7                                       // 0000000051DC: 7E0E4107
	v_add_f32_e64 v4, v4, 1.0                                  // 0000000051E0: D1010004 0001E504
	v_add_f32_e64 v5, v5, 1.0                                  // 0000000051E8: D1010005 0001E505
	v_add_f32_e64 v6, v6, 1.0                                  // 0000000051F0: D1010006 0001E506
	v_add_f32_e64 v7, v7, 1.0                                  // 0000000051F8: D1010007 0001E507
	v_rcp_f32_e32 v4, v4                                       // 000000005200: 7E084504
	v_rcp_f32_e32 v5, v5                                       // 000000005204: 7E0A4505
	v_rcp_f32_e32 v6, v6                                       // 000000005208: 7E0C4506
	v_rcp_f32_e32 v7, v7                                       // 00000000520C: 7E0E4507
	v_mul_f32_e32 v48, v48, v4                                 // 000000005210: 0A600930
	v_mul_f32_e32 v49, v49, v5                                 // 000000005214: 0A620B31
	v_mul_f32_e32 v50, v50, v6                                 // 000000005218: 0A640D32
	v_mul_f32_e32 v51, v51, v7                                 // 00000000521C: 0A660F33
	v_mul_f32_e32 v48, v48, v56                                // 000000005220: 0A607130
	v_mul_f32_e32 v49, v49, v57                                // 000000005224: 0A627331
	v_mul_f32_e32 v50, v50, v58                                // 000000005228: 0A647532
	v_mul_f32_e32 v51, v51, v59                                // 00000000522C: 0A667733
	s_branch label_0A50                                        // 000000005230: BF820040

0000000000005234 <label_0A10>:
	v_mul_f32_e64 v4, -v44, s6                                 // 000000005234: D1050004 20000D2C
	v_mul_f32_e64 v5, -v45, s6                                 // 00000000523C: D1050005 20000D2D
	v_mul_f32_e64 v6, -v46, s6                                 // 000000005244: D1050006 20000D2E
	v_mul_f32_e64 v7, -v47, s6                                 // 00000000524C: D1050007 20000D2F
	v_exp_f32_e32 v4, v4                                       // 000000005254: 7E084104
	v_exp_f32_e32 v5, v5                                       // 000000005258: 7E0A4105
	v_exp_f32_e32 v6, v6                                       // 00000000525C: 7E0C4106
	v_exp_f32_e32 v7, v7                                       // 000000005260: 7E0E4107
	v_add_f32_e64 v4, v4, 1.0                                  // 000000005264: D1010004 0001E504
	v_add_f32_e64 v5, v5, 1.0                                  // 00000000526C: D1010005 0001E505
	v_add_f32_e64 v6, v6, 1.0                                  // 000000005274: D1010006 0001E506
	v_add_f32_e64 v7, v7, 1.0                                  // 00000000527C: D1010007 0001E507
	v_rcp_f32_e32 v4, v4                                       // 000000005284: 7E084504
	v_rcp_f32_e32 v5, v5                                       // 000000005288: 7E0A4505
	v_rcp_f32_e32 v6, v6                                       // 00000000528C: 7E0C4506
	v_rcp_f32_e32 v7, v7                                       // 000000005290: 7E0E4507
	v_mul_f32_e32 v44, v44, v4                                 // 000000005294: 0A58092C
	v_mul_f32_e32 v45, v45, v5                                 // 000000005298: 0A5A0B2D
	v_mul_f32_e32 v46, v46, v6                                 // 00000000529C: 0A5C0D2E
	v_mul_f32_e32 v47, v47, v7                                 // 0000000052A0: 0A5E0F2F
	v_mul_f32_e32 v44, v44, v52                                // 0000000052A4: 0A58692C
	v_mul_f32_e32 v45, v45, v53                                // 0000000052A8: 0A5A6B2D
	v_mul_f32_e32 v46, v46, v54                                // 0000000052AC: 0A5C6D2E
	v_mul_f32_e32 v47, v47, v55                                // 0000000052B0: 0A5E6F2F
	v_mul_f32_e64 v4, -v48, s6                                 // 0000000052B4: D1050004 20000D30
	v_mul_f32_e64 v5, -v49, s6                                 // 0000000052BC: D1050005 20000D31
	v_mul_f32_e64 v6, -v50, s6                                 // 0000000052C4: D1050006 20000D32
	v_mul_f32_e64 v7, -v51, s6                                 // 0000000052CC: D1050007 20000D33
	v_exp_f32_e32 v4, v4                                       // 0000000052D4: 7E084104
	v_exp_f32_e32 v5, v5                                       // 0000000052D8: 7E0A4105
	v_exp_f32_e32 v6, v6                                       // 0000000052DC: 7E0C4106
	v_exp_f32_e32 v7, v7                                       // 0000000052E0: 7E0E4107
	v_add_f32_e64 v4, v4, 1.0                                  // 0000000052E4: D1010004 0001E504
	v_add_f32_e64 v5, v5, 1.0                                  // 0000000052EC: D1010005 0001E505
	v_add_f32_e64 v6, v6, 1.0                                  // 0000000052F4: D1010006 0001E506
	v_add_f32_e64 v7, v7, 1.0                                  // 0000000052FC: D1010007 0001E507
	v_rcp_f32_e32 v4, v4                                       // 000000005304: 7E084504
	v_rcp_f32_e32 v5, v5                                       // 000000005308: 7E0A4505
	v_rcp_f32_e32 v6, v6                                       // 00000000530C: 7E0C4506
	v_rcp_f32_e32 v7, v7                                       // 000000005310: 7E0E4507
	v_mul_f32_e32 v48, v48, v4                                 // 000000005314: 0A600930
	v_mul_f32_e32 v49, v49, v5                                 // 000000005318: 0A620B31
	v_mul_f32_e32 v50, v50, v6                                 // 00000000531C: 0A640D32
	v_mul_f32_e32 v51, v51, v7                                 // 000000005320: 0A660F33
	v_mul_f32_e32 v48, v48, v56                                // 000000005324: 0A607130
	v_mul_f32_e32 v49, v49, v57                                // 000000005328: 0A627331
	v_mul_f32_e32 v50, v50, v58                                // 00000000532C: 0A647532
	v_mul_f32_e32 v51, v51, v59                                // 000000005330: 0A667733

0000000000005334 <label_0A50>:
	v_cmp_u_f32_e64 s[46:47], v44, v44                         // 000000005334: D048002E 0002592C
	v_add3_u32 v16, v44, v19, 1                                // 00000000533C: D1FF0010 0206272C
	v_cndmask_b32_e64 v4, v16, v18, s[46:47]                   // 000000005344: D1000004 00BA2510
	v_cmp_u_f32_e64 s[46:47], v45, v45                         // 00000000534C: D048002E 00025B2D
	v_add3_u32 v16, v45, v19, 1                                // 000000005354: D1FF0010 0206272D
	v_cndmask_b32_e64 v5, v16, v18, s[46:47]                   // 00000000535C: D1000005 00BA2510
	v_perm_b32 v44, v5, v4, s52                                // 000000005364: D1ED002C 00D20905
	v_cmp_u_f32_e64 s[46:47], v46, v46                         // 00000000536C: D048002E 00025D2E
	v_add3_u32 v16, v46, v19, 1                                // 000000005374: D1FF0010 0206272E
	v_cndmask_b32_e64 v4, v16, v18, s[46:47]                   // 00000000537C: D1000004 00BA2510
	v_cmp_u_f32_e64 s[46:47], v47, v47                         // 000000005384: D048002E 00025F2F
	v_add3_u32 v16, v47, v19, 1                                // 00000000538C: D1FF0010 0206272F
	v_cndmask_b32_e64 v5, v16, v18, s[46:47]                   // 000000005394: D1000005 00BA2510
	v_perm_b32 v45, v5, v4, s52                                // 00000000539C: D1ED002D 00D20905
	v_cmp_u_f32_e64 s[46:47], v48, v48                         // 0000000053A4: D048002E 00026130
	v_add3_u32 v16, v48, v19, 1                                // 0000000053AC: D1FF0010 02062730
	v_cndmask_b32_e64 v4, v16, v18, s[46:47]                   // 0000000053B4: D1000004 00BA2510
	v_cmp_u_f32_e64 s[46:47], v49, v49                         // 0000000053BC: D048002E 00026331
	v_add3_u32 v16, v49, v19, 1                                // 0000000053C4: D1FF0010 02062731
	v_cndmask_b32_e64 v5, v16, v18, s[46:47]                   // 0000000053CC: D1000005 00BA2510
	v_perm_b32 v46, v5, v4, s52                                // 0000000053D4: D1ED002E 00D20905
	v_cmp_u_f32_e64 s[46:47], v50, v50                         // 0000000053DC: D048002E 00026532
	v_add3_u32 v16, v50, v19, 1                                // 0000000053E4: D1FF0010 02062732
	v_cndmask_b32_e64 v4, v16, v18, s[46:47]                   // 0000000053EC: D1000004 00BA2510
	v_cmp_u_f32_e64 s[46:47], v51, v51                         // 0000000053F4: D048002E 00026733
	v_add3_u32 v16, v51, v19, 1                                // 0000000053FC: D1FF0010 02062733
	v_cndmask_b32_e64 v5, v16, v18, s[46:47]                   // 000000005404: D1000005 00BA2510
	v_perm_b32 v47, v5, v4, s52                                // 00000000540C: D1ED002F 00D20905
	ds_write_b64 v20, v[44:45]                                 // 000000005414: D89A0000 00002C14
	ds_write_b64 v20, v[46:47] offset:2176                     // 00000000541C: D89A0880 00002E14
	v_lshrrev_b32_e32 v4, 5, v0                                // 000000005424: 20080085
	v_xor_b32_e32 v5, 1, v4                                    // 000000005428: 2A0A0881
	s_mul_i32 s60, s65, 2                                      // 00000000542C: 923C8241
	s_cmp_eq_u32 s88, 0                                        // 000000005430: BF068058
	s_cselect_b32 s61, 1, 4                                    // 000000005434: 853D8481
	s_mul_i32 s60, s61, s60                                    // 000000005438: 923C3C3D
	v_readlane_b32 s82, v3, 0                                  // 00000000543C: D2890052 00010103
	s_lshr_b32 s61, s82, 24                                    // 000000005444: 8F3D9852
	s_and_b32 s82, s82, 0xffffff                               // 000000005448: 8652FF52 00FFFFFF
	s_mul_i32 s82, s82, s71                                    // 000000005450: 92524752
	s_mul_i32 s61, s60, s61                                    // 000000005454: 923D3D3C
	s_add_u32 s82, s82, s61                                    // 000000005458: 80523D52
	v_mul_lo_u32 v6, v5, s82                                   // 00000000545C: D2850006 0000A505
	v_readlane_b32 s82, v3, 1                                  // 000000005464: D2890052 00010303
	s_lshr_b32 s61, s82, 24                                    // 00000000546C: 8F3D9852
	s_and_b32 s82, s82, 0xffffff                               // 000000005470: 8652FF52 00FFFFFF
	s_mul_i32 s82, s82, s71                                    // 000000005478: 92524752
	s_mul_i32 s61, s60, s61                                    // 00000000547C: 923D3D3C
	s_add_u32 s82, s82, s61                                    // 000000005480: 80523D52
	v_mul_lo_u32 v7, v4, s82                                   // 000000005484: D2850007 0000A504
	v_add_u32_e32 v38, v6, v7                                  // 00000000548C: 684C0F06
	v_readlane_b32 s82, v3, 2                                  // 000000005490: D2890052 00010503
	s_lshr_b32 s61, s82, 24                                    // 000000005498: 8F3D9852
	s_and_b32 s82, s82, 0xffffff                               // 00000000549C: 8652FF52 00FFFFFF
	s_mul_i32 s82, s82, s71                                    // 0000000054A4: 92524752
	s_mul_i32 s61, s60, s61                                    // 0000000054A8: 923D3D3C
	s_add_u32 s82, s82, s61                                    // 0000000054AC: 80523D52
	v_mul_lo_u32 v6, v5, s82                                   // 0000000054B0: D2850006 0000A505
	v_readlane_b32 s82, v3, 3                                  // 0000000054B8: D2890052 00010703
	s_lshr_b32 s61, s82, 24                                    // 0000000054C0: 8F3D9852
	s_and_b32 s82, s82, 0xffffff                               // 0000000054C4: 8652FF52 00FFFFFF
	s_mul_i32 s82, s82, s71                                    // 0000000054CC: 92524752
	s_mul_i32 s61, s60, s61                                    // 0000000054D0: 923D3D3C
	s_add_u32 s82, s82, s61                                    // 0000000054D4: 80523D52
	v_mul_lo_u32 v7, v4, s82                                   // 0000000054D8: D2850007 0000A504
	v_add_u32_e32 v39, v6, v7                                  // 0000000054E0: 684E0F06
	v_readlane_b32 s82, v3, 4                                  // 0000000054E4: D2890052 00010903
	s_lshr_b32 s61, s82, 24                                    // 0000000054EC: 8F3D9852
	s_and_b32 s82, s82, 0xffffff                               // 0000000054F0: 8652FF52 00FFFFFF
	s_mul_i32 s82, s82, s71                                    // 0000000054F8: 92524752
	s_mul_i32 s61, s60, s61                                    // 0000000054FC: 923D3D3C
	s_add_u32 s82, s82, s61                                    // 000000005500: 80523D52
	v_mul_lo_u32 v6, v5, s82                                   // 000000005504: D2850006 0000A505
	v_readlane_b32 s82, v3, 5                                  // 00000000550C: D2890052 00010B03
	s_lshr_b32 s61, s82, 24                                    // 000000005514: 8F3D9852
	s_and_b32 s82, s82, 0xffffff                               // 000000005518: 8652FF52 00FFFFFF
	s_mul_i32 s82, s82, s71                                    // 000000005520: 92524752
	s_mul_i32 s61, s60, s61                                    // 000000005524: 923D3D3C
	s_add_u32 s82, s82, s61                                    // 000000005528: 80523D52
	v_mul_lo_u32 v7, v4, s82                                   // 00000000552C: D2850007 0000A504
	v_add_u32_e32 v40, v6, v7                                  // 000000005534: 68500F06
	v_readlane_b32 s82, v3, 6                                  // 000000005538: D2890052 00010D03
	s_lshr_b32 s61, s82, 24                                    // 000000005540: 8F3D9852
	s_and_b32 s82, s82, 0xffffff                               // 000000005544: 8652FF52 00FFFFFF
	s_mul_i32 s82, s82, s71                                    // 00000000554C: 92524752
	s_mul_i32 s61, s60, s61                                    // 000000005550: 923D3D3C
	s_add_u32 s82, s82, s61                                    // 000000005554: 80523D52
	v_mul_lo_u32 v6, v5, s82                                   // 000000005558: D2850006 0000A505
	v_readlane_b32 s82, v3, 7                                  // 000000005560: D2890052 00010F03
	s_lshr_b32 s61, s82, 24                                    // 000000005568: 8F3D9852
	s_and_b32 s82, s82, 0xffffff                               // 00000000556C: 8652FF52 00FFFFFF
	s_mul_i32 s82, s82, s71                                    // 000000005574: 92524752
	s_mul_i32 s61, s60, s61                                    // 000000005578: 923D3D3C
	s_add_u32 s82, s82, s61                                    // 00000000557C: 80523D52
	v_mul_lo_u32 v7, v4, s82                                   // 000000005580: D2850007 0000A504
	v_add_u32_e32 v41, v6, v7                                  // 000000005588: 68520F06
	v_and_b32_e32 v4, 31, v0                                   // 00000000558C: 2608009F
	v_lshrrev_b32_e32 v4, 1, v4                                // 000000005590: 20080881
	s_cmp_eq_u32 s88, 0                                        // 000000005594: BF068058
	s_cselect_b32 s61, 2, 4                                    // 000000005598: 853D8482
	v_mul_lo_u32 v4, v4, s61                                   // 00000000559C: D2850004 00007B04
	v_and_b32_e64 v5, v0, 1                                    // 0000000055A4: D1130005 00010300
	v_add_u32_e32 v4, v4, v5                                   // 0000000055AC: 68080B04
	v_lshlrev_b32_e32 v4, 2, v4                                // 0000000055B0: 24080882
	v_add_u32_e32 v38, v38, v4                                 // 0000000055B4: 684C0926
	v_add_u32_e32 v39, v39, v4                                 // 0000000055B8: 684E0927
	v_add_u32_e32 v40, v40, v4                                 // 0000000055BC: 68500928
	v_add_u32_e32 v41, v41, v4                                 // 0000000055C0: 68520929
	s_waitcnt lgkmcnt(0)                                       // 0000000055C4: BF8CC07F
	s_barrier                                                  // 0000000055C8: BF8A0000
	ds_read_b32 v44, v21                                       // 0000000055CC: D86C0000 2C000015
	ds_read_b32 v45, v21 offset:64                             // 0000000055D4: D86C0040 2D000015
	ds_read_b32 v46, v21 offset:2176                           // 0000000055DC: D86C0880 2E000015
	ds_read_b32 v47, v21 offset:2240                           // 0000000055E4: D86C08C0 2F000015
	s_waitcnt lgkmcnt(0)                                       // 0000000055EC: BF8CC07F
	s_mov_b32 s36, -1                                          // 0000000055F0: BEA400C1
	s_mov_b32 s37, -1                                          // 0000000055F4: BEA500C1
	v_mov_b32_e32 v7, 0                                        // 0000000055F8: 7E0E0280
	s_or_b32 s9, s9, 0x40000                                   // 0000000055FC: 8709FF09 00040000
	s_mov_b64 exec, s[36:37]                                   // 000000005604: BEFE0124
	v_mov_b32_e32 v6, v38                                      // 000000005608: 7E0C0326
	s_mov_b64 s[60:61], 0                                      // 00000000560C: BEBC0180
	v_readlane_b32 s82, v3, 0                                  // 000000005610: D2890052 00010103
	s_and_b32 s82, s82, 0xffffff                               // 000000005618: 8652FF52 00FFFFFF
	s_cmp_lt_u32 s82, s66                                      // 000000005620: BF0A4252
	s_cselect_b32 s20, s36, s60                                // 000000005624: 85143C24
	v_readlane_b32 s82, v3, 1                                  // 000000005628: D2890052 00010303
	s_and_b32 s82, s82, 0xffffff                               // 000000005630: 8652FF52 00FFFFFF
	s_cmp_lt_u32 s82, s66                                      // 000000005638: BF0A4252
	s_cselect_b32 s21, s36, s60                                // 00000000563C: 85153C24
	s_mov_b64 exec, s[20:21]                                   // 000000005640: BEFE0114
	buffer_store_dword v44, v6, s[8:11], 0 offen               // 000000005644: E0701000 80022C06
	s_mov_b64 exec, s[36:37]                                   // 00000000564C: BEFE0124
	v_mov_b32_e32 v6, v39                                      // 000000005650: 7E0C0327
	s_mov_b64 s[60:61], 0                                      // 000000005654: BEBC0180
	v_readlane_b32 s82, v3, 2                                  // 000000005658: D2890052 00010503
	s_and_b32 s82, s82, 0xffffff                               // 000000005660: 8652FF52 00FFFFFF
	s_cmp_lt_u32 s82, s66                                      // 000000005668: BF0A4252
	s_cselect_b32 s20, s36, s60                                // 00000000566C: 85143C24
	v_readlane_b32 s82, v3, 3                                  // 000000005670: D2890052 00010703
	s_and_b32 s82, s82, 0xffffff                               // 000000005678: 8652FF52 00FFFFFF
	s_cmp_lt_u32 s82, s66                                      // 000000005680: BF0A4252
	s_cselect_b32 s21, s36, s60                                // 000000005684: 85153C24
	s_mov_b64 exec, s[20:21]                                   // 000000005688: BEFE0114
	buffer_store_dword v45, v6, s[8:11], 0 offen               // 00000000568C: E0701000 80022D06
	s_mov_b64 exec, s[36:37]                                   // 000000005694: BEFE0124
	v_mov_b32_e32 v6, v40                                      // 000000005698: 7E0C0328
	s_mov_b64 s[60:61], 0                                      // 00000000569C: BEBC0180
	v_readlane_b32 s82, v3, 4                                  // 0000000056A0: D2890052 00010903
	s_and_b32 s82, s82, 0xffffff                               // 0000000056A8: 8652FF52 00FFFFFF
	s_cmp_lt_u32 s82, s66                                      // 0000000056B0: BF0A4252
	s_cselect_b32 s20, s36, s60                                // 0000000056B4: 85143C24
	v_readlane_b32 s82, v3, 5                                  // 0000000056B8: D2890052 00010B03
	s_and_b32 s82, s82, 0xffffff                               // 0000000056C0: 8652FF52 00FFFFFF
	s_cmp_lt_u32 s82, s66                                      // 0000000056C8: BF0A4252
	s_cselect_b32 s21, s36, s60                                // 0000000056CC: 85153C24
	s_mov_b64 exec, s[20:21]                                   // 0000000056D0: BEFE0114
	buffer_store_dword v46, v6, s[8:11], 0 offen               // 0000000056D4: E0701000 80022E06
	s_mov_b64 exec, s[36:37]                                   // 0000000056DC: BEFE0124
	v_mov_b32_e32 v6, v41                                      // 0000000056E0: 7E0C0329
	s_mov_b64 s[60:61], 0                                      // 0000000056E4: BEBC0180
	v_readlane_b32 s82, v3, 6                                  // 0000000056E8: D2890052 00010D03
	s_and_b32 s82, s82, 0xffffff                               // 0000000056F0: 8652FF52 00FFFFFF
	s_cmp_lt_u32 s82, s66                                      // 0000000056F8: BF0A4252
	s_cselect_b32 s20, s36, s60                                // 0000000056FC: 85143C24
	v_readlane_b32 s82, v3, 7                                  // 000000005700: D2890052 00010F03
	s_and_b32 s82, s82, 0xffffff                               // 000000005708: 8652FF52 00FFFFFF
	s_cmp_lt_u32 s82, s66                                      // 000000005710: BF0A4252
	s_cselect_b32 s21, s36, s60                                // 000000005714: 85153C24
	s_mov_b64 exec, s[20:21]                                   // 000000005718: BEFE0114
	buffer_store_dword v47, v6, s[8:11], 0 offen               // 00000000571C: E0701000 80022F06
	s_mov_b64 exec, s[36:37]                                   // 000000005724: BEFE0124
	s_branch label_0D20                                        // 000000005728: BF8201D2

000000000000572c <label_0B4E>:
	ds_write_b64 v20, v[44:45]                                 // 00000000572C: D89A0000 00002C14
	ds_write_b64 v20, v[48:49] offset:2176                     // 000000005734: D89A0880 00003014
	v_lshrrev_b32_e32 v4, 5, v0                                // 00000000573C: 20080085
	v_xor_b32_e32 v5, 1, v4                                    // 000000005740: 2A0A0881
	s_mul_i32 s60, s65, 2                                      // 000000005744: 923C8241
	s_cmp_eq_u32 s88, 0                                        // 000000005748: BF068058
	s_cselect_b32 s61, 1, 4                                    // 00000000574C: 853D8481
	s_mul_i32 s60, s61, s60                                    // 000000005750: 923C3C3D
	v_readlane_b32 s82, v3, 0                                  // 000000005754: D2890052 00010103
	s_lshr_b32 s61, s82, 24                                    // 00000000575C: 8F3D9852
	s_and_b32 s82, s82, 0xffffff                               // 000000005760: 8652FF52 00FFFFFF
	s_mul_i32 s82, s82, s71                                    // 000000005768: 92524752
	s_mul_i32 s61, s60, s61                                    // 00000000576C: 923D3D3C
	s_add_u32 s82, s82, s61                                    // 000000005770: 80523D52
	v_mul_lo_u32 v6, v5, s82                                   // 000000005774: D2850006 0000A505
	v_readlane_b32 s82, v3, 1                                  // 00000000577C: D2890052 00010303
	s_lshr_b32 s61, s82, 24                                    // 000000005784: 8F3D9852
	s_and_b32 s82, s82, 0xffffff                               // 000000005788: 8652FF52 00FFFFFF
	s_mul_i32 s82, s82, s71                                    // 000000005790: 92524752
	s_mul_i32 s61, s60, s61                                    // 000000005794: 923D3D3C
	s_add_u32 s82, s82, s61                                    // 000000005798: 80523D52
	v_mul_lo_u32 v7, v4, s82                                   // 00000000579C: D2850007 0000A504
	v_add_u32_e32 v38, v6, v7                                  // 0000000057A4: 684C0F06
	v_readlane_b32 s82, v3, 2                                  // 0000000057A8: D2890052 00010503
	s_lshr_b32 s61, s82, 24                                    // 0000000057B0: 8F3D9852
	s_and_b32 s82, s82, 0xffffff                               // 0000000057B4: 8652FF52 00FFFFFF
	s_mul_i32 s82, s82, s71                                    // 0000000057BC: 92524752
	s_mul_i32 s61, s60, s61                                    // 0000000057C0: 923D3D3C
	s_add_u32 s82, s82, s61                                    // 0000000057C4: 80523D52
	v_mul_lo_u32 v6, v5, s82                                   // 0000000057C8: D2850006 0000A505
	v_readlane_b32 s82, v3, 3                                  // 0000000057D0: D2890052 00010703
	s_lshr_b32 s61, s82, 24                                    // 0000000057D8: 8F3D9852
	s_and_b32 s82, s82, 0xffffff                               // 0000000057DC: 8652FF52 00FFFFFF
	s_mul_i32 s82, s82, s71                                    // 0000000057E4: 92524752
	s_mul_i32 s61, s60, s61                                    // 0000000057E8: 923D3D3C
	s_add_u32 s82, s82, s61                                    // 0000000057EC: 80523D52
	v_mul_lo_u32 v7, v4, s82                                   // 0000000057F0: D2850007 0000A504
	v_add_u32_e32 v39, v6, v7                                  // 0000000057F8: 684E0F06
	v_readlane_b32 s82, v3, 4                                  // 0000000057FC: D2890052 00010903
	s_lshr_b32 s61, s82, 24                                    // 000000005804: 8F3D9852
	s_and_b32 s82, s82, 0xffffff                               // 000000005808: 8652FF52 00FFFFFF
	s_mul_i32 s82, s82, s71                                    // 000000005810: 92524752
	s_mul_i32 s61, s60, s61                                    // 000000005814: 923D3D3C
	s_add_u32 s82, s82, s61                                    // 000000005818: 80523D52
	v_mul_lo_u32 v6, v5, s82                                   // 00000000581C: D2850006 0000A505
	v_readlane_b32 s82, v3, 5                                  // 000000005824: D2890052 00010B03
	s_lshr_b32 s61, s82, 24                                    // 00000000582C: 8F3D9852
	s_and_b32 s82, s82, 0xffffff                               // 000000005830: 8652FF52 00FFFFFF
	s_mul_i32 s82, s82, s71                                    // 000000005838: 92524752
	s_mul_i32 s61, s60, s61                                    // 00000000583C: 923D3D3C
	s_add_u32 s82, s82, s61                                    // 000000005840: 80523D52
	v_mul_lo_u32 v7, v4, s82                                   // 000000005844: D2850007 0000A504
	v_add_u32_e32 v40, v6, v7                                  // 00000000584C: 68500F06
	v_readlane_b32 s82, v3, 6                                  // 000000005850: D2890052 00010D03
	s_lshr_b32 s61, s82, 24                                    // 000000005858: 8F3D9852
	s_and_b32 s82, s82, 0xffffff                               // 00000000585C: 8652FF52 00FFFFFF
	s_mul_i32 s82, s82, s71                                    // 000000005864: 92524752
	s_mul_i32 s61, s60, s61                                    // 000000005868: 923D3D3C
	s_add_u32 s82, s82, s61                                    // 00000000586C: 80523D52
	v_mul_lo_u32 v6, v5, s82                                   // 000000005870: D2850006 0000A505
	v_readlane_b32 s82, v3, 7                                  // 000000005878: D2890052 00010F03
	s_lshr_b32 s61, s82, 24                                    // 000000005880: 8F3D9852
	s_and_b32 s82, s82, 0xffffff                               // 000000005884: 8652FF52 00FFFFFF
	s_mul_i32 s82, s82, s71                                    // 00000000588C: 92524752
	s_mul_i32 s61, s60, s61                                    // 000000005890: 923D3D3C
	s_add_u32 s82, s82, s61                                    // 000000005894: 80523D52
	v_mul_lo_u32 v7, v4, s82                                   // 000000005898: D2850007 0000A504
	v_add_u32_e32 v41, v6, v7                                  // 0000000058A0: 68520F06
	v_and_b32_e32 v4, 31, v0                                   // 0000000058A4: 2608009F
	v_lshrrev_b32_e32 v4, 1, v4                                // 0000000058A8: 20080881
	s_cmp_eq_u32 s88, 0                                        // 0000000058AC: BF068058
	s_cselect_b32 s61, 2, 4                                    // 0000000058B0: 853D8482
	v_mul_lo_u32 v4, v4, s61                                   // 0000000058B4: D2850004 00007B04
	v_and_b32_e64 v5, v0, 1                                    // 0000000058BC: D1130005 00010300
	v_add_u32_e32 v4, v4, v5                                   // 0000000058C4: 68080B04
	v_lshlrev_b32_e32 v4, 2, v4                                // 0000000058C8: 24080882
	v_add_u32_e32 v38, v38, v4                                 // 0000000058CC: 684C0926
	v_add_u32_e32 v39, v39, v4                                 // 0000000058D0: 684E0927
	v_add_u32_e32 v40, v40, v4                                 // 0000000058D4: 68500928
	v_add_u32_e32 v41, v41, v4                                 // 0000000058D8: 68520929
	s_waitcnt lgkmcnt(0)                                       // 0000000058DC: BF8CC07F
	s_barrier                                                  // 0000000058E0: BF8A0000
	ds_read_b32 v44, v21                                       // 0000000058E4: D86C0000 2C000015
	ds_read_b32 v45, v21 offset:64                             // 0000000058EC: D86C0040 2D000015
	ds_read_b32 v48, v21 offset:2176                           // 0000000058F4: D86C0880 30000015
	ds_read_b32 v49, v21 offset:2240                           // 0000000058FC: D86C08C0 31000015
	s_waitcnt lgkmcnt(0)                                       // 000000005904: BF8CC07F
	s_mov_b32 s36, -1                                          // 000000005908: BEA400C1
	s_mov_b32 s37, -1                                          // 00000000590C: BEA500C1
	v_mov_b32_e32 v7, 0                                        // 000000005910: 7E0E0280
	s_mov_b64 exec, s[36:37]                                   // 000000005914: BEFE0124
	v_mov_b32_e32 v6, v38                                      // 000000005918: 7E0C0326
	s_mov_b64 s[60:61], 0                                      // 00000000591C: BEBC0180
	v_readlane_b32 s82, v3, 0                                  // 000000005920: D2890052 00010103
	s_and_b32 s82, s82, 0xffffff                               // 000000005928: 8652FF52 00FFFFFF
	s_cmp_lt_u32 s82, s66                                      // 000000005930: BF0A4252
	s_cselect_b32 s20, s36, s60                                // 000000005934: 85143C24
	v_readlane_b32 s82, v3, 1                                  // 000000005938: D2890052 00010303
	s_and_b32 s82, s82, 0xffffff                               // 000000005940: 8652FF52 00FFFFFF
	s_cmp_lt_u32 s82, s66                                      // 000000005948: BF0A4252
	s_cselect_b32 s21, s36, s60                                // 00000000594C: 85153C24
	s_mov_b64 exec, s[20:21]                                   // 000000005950: BEFE0114
	global_atomic_add_f32 v6, v44, s[8:9]                      // 000000005954: DD348000 00082C06
	s_mov_b64 exec, s[36:37]                                   // 00000000595C: BEFE0124
	v_mov_b32_e32 v6, v39                                      // 000000005960: 7E0C0327
	s_mov_b64 s[60:61], 0                                      // 000000005964: BEBC0180
	v_readlane_b32 s82, v3, 2                                  // 000000005968: D2890052 00010503
	s_and_b32 s82, s82, 0xffffff                               // 000000005970: 8652FF52 00FFFFFF
	s_cmp_lt_u32 s82, s66                                      // 000000005978: BF0A4252
	s_cselect_b32 s20, s36, s60                                // 00000000597C: 85143C24
	v_readlane_b32 s82, v3, 3                                  // 000000005980: D2890052 00010703
	s_and_b32 s82, s82, 0xffffff                               // 000000005988: 8652FF52 00FFFFFF
	s_cmp_lt_u32 s82, s66                                      // 000000005990: BF0A4252
	s_cselect_b32 s21, s36, s60                                // 000000005994: 85153C24
	s_mov_b64 exec, s[20:21]                                   // 000000005998: BEFE0114
	global_atomic_add_f32 v6, v45, s[8:9]                      // 00000000599C: DD348000 00082D06
	s_mov_b64 exec, s[36:37]                                   // 0000000059A4: BEFE0124
	v_mov_b32_e32 v6, v40                                      // 0000000059A8: 7E0C0328
	s_mov_b64 s[60:61], 0                                      // 0000000059AC: BEBC0180
	v_readlane_b32 s82, v3, 4                                  // 0000000059B0: D2890052 00010903
	s_and_b32 s82, s82, 0xffffff                               // 0000000059B8: 8652FF52 00FFFFFF
	s_cmp_lt_u32 s82, s66                                      // 0000000059C0: BF0A4252
	s_cselect_b32 s20, s36, s60                                // 0000000059C4: 85143C24
	v_readlane_b32 s82, v3, 5                                  // 0000000059C8: D2890052 00010B03
	s_and_b32 s82, s82, 0xffffff                               // 0000000059D0: 8652FF52 00FFFFFF
	s_cmp_lt_u32 s82, s66                                      // 0000000059D8: BF0A4252
	s_cselect_b32 s21, s36, s60                                // 0000000059DC: 85153C24
	s_mov_b64 exec, s[20:21]                                   // 0000000059E0: BEFE0114
	global_atomic_add_f32 v6, v48, s[8:9]                      // 0000000059E4: DD348000 00083006
	s_mov_b64 exec, s[36:37]                                   // 0000000059EC: BEFE0124
	v_mov_b32_e32 v6, v41                                      // 0000000059F0: 7E0C0329
	s_mov_b64 s[60:61], 0                                      // 0000000059F4: BEBC0180
	v_readlane_b32 s82, v3, 6                                  // 0000000059F8: D2890052 00010D03
	s_and_b32 s82, s82, 0xffffff                               // 000000005A00: 8652FF52 00FFFFFF
	s_cmp_lt_u32 s82, s66                                      // 000000005A08: BF0A4252
	s_cselect_b32 s20, s36, s60                                // 000000005A0C: 85143C24
	v_readlane_b32 s82, v3, 7                                  // 000000005A10: D2890052 00010F03
	s_and_b32 s82, s82, 0xffffff                               // 000000005A18: 8652FF52 00FFFFFF
	s_cmp_lt_u32 s82, s66                                      // 000000005A20: BF0A4252
	s_cselect_b32 s21, s36, s60                                // 000000005A24: 85153C24
	s_mov_b64 exec, s[20:21]                                   // 000000005A28: BEFE0114
	global_atomic_add_f32 v6, v49, s[8:9]                      // 000000005A2C: DD348000 00083106
	s_mov_b64 exec, s[36:37]                                   // 000000005A34: BEFE0124
	ds_write_b64 v20, v[46:47]                                 // 000000005A38: D89A0000 00002E14
	ds_write_b64 v20, v[50:51] offset:2176                     // 000000005A40: D89A0880 00003214
	s_waitcnt lgkmcnt(0)                                       // 000000005A48: BF8CC07F
	s_barrier                                                  // 000000005A4C: BF8A0000
	ds_read_b32 v46, v21                                       // 000000005A50: D86C0000 2E000015
	ds_read_b32 v47, v21 offset:64                             // 000000005A58: D86C0040 2F000015
	ds_read_b32 v50, v21 offset:2176                           // 000000005A60: D86C0880 32000015
	ds_read_b32 v51, v21 offset:2240                           // 000000005A68: D86C08C0 33000015
	s_waitcnt lgkmcnt(0)                                       // 000000005A70: BF8CC07F
	v_mov_b32_e32 v7, 0                                        // 000000005A74: 7E0E0280
	s_mov_b64 exec, s[36:37]                                   // 000000005A78: BEFE0124
	v_mov_b32_e32 v6, v38                                      // 000000005A7C: 7E0C0326
	s_mov_b64 s[60:61], 0                                      // 000000005A80: BEBC0180
	v_readlane_b32 s82, v3, 0                                  // 000000005A84: D2890052 00010103
	s_and_b32 s82, s82, 0xffffff                               // 000000005A8C: 8652FF52 00FFFFFF
	s_cmp_lt_u32 s82, s66                                      // 000000005A94: BF0A4252
	s_cselect_b32 s20, s36, s60                                // 000000005A98: 85143C24
	v_readlane_b32 s82, v3, 1                                  // 000000005A9C: D2890052 00010303
	s_and_b32 s82, s82, 0xffffff                               // 000000005AA4: 8652FF52 00FFFFFF
	s_cmp_lt_u32 s82, s66                                      // 000000005AAC: BF0A4252
	s_cselect_b32 s21, s36, s60                                // 000000005AB0: 85153C24
	s_mov_b64 exec, s[20:21]                                   // 000000005AB4: BEFE0114
	global_atomic_add_f32 v6, v46, s[8:9] offset:8             // 000000005AB8: DD348008 00082E06
	s_mov_b64 exec, s[36:37]                                   // 000000005AC0: BEFE0124
	v_mov_b32_e32 v6, v39                                      // 000000005AC4: 7E0C0327
	s_mov_b64 s[60:61], 0                                      // 000000005AC8: BEBC0180
	v_readlane_b32 s82, v3, 2                                  // 000000005ACC: D2890052 00010503
	s_and_b32 s82, s82, 0xffffff                               // 000000005AD4: 8652FF52 00FFFFFF
	s_cmp_lt_u32 s82, s66                                      // 000000005ADC: BF0A4252
	s_cselect_b32 s20, s36, s60                                // 000000005AE0: 85143C24
	v_readlane_b32 s82, v3, 3                                  // 000000005AE4: D2890052 00010703
	s_and_b32 s82, s82, 0xffffff                               // 000000005AEC: 8652FF52 00FFFFFF
	s_cmp_lt_u32 s82, s66                                      // 000000005AF4: BF0A4252
	s_cselect_b32 s21, s36, s60                                // 000000005AF8: 85153C24
	s_mov_b64 exec, s[20:21]                                   // 000000005AFC: BEFE0114
	global_atomic_add_f32 v6, v47, s[8:9] offset:8             // 000000005B00: DD348008 00082F06
	s_mov_b64 exec, s[36:37]                                   // 000000005B08: BEFE0124
	v_mov_b32_e32 v6, v40                                      // 000000005B0C: 7E0C0328
	s_mov_b64 s[60:61], 0                                      // 000000005B10: BEBC0180
	v_readlane_b32 s82, v3, 4                                  // 000000005B14: D2890052 00010903
	s_and_b32 s82, s82, 0xffffff                               // 000000005B1C: 8652FF52 00FFFFFF
	s_cmp_lt_u32 s82, s66                                      // 000000005B24: BF0A4252
	s_cselect_b32 s20, s36, s60                                // 000000005B28: 85143C24
	v_readlane_b32 s82, v3, 5                                  // 000000005B2C: D2890052 00010B03
	s_and_b32 s82, s82, 0xffffff                               // 000000005B34: 8652FF52 00FFFFFF
	s_cmp_lt_u32 s82, s66                                      // 000000005B3C: BF0A4252
	s_cselect_b32 s21, s36, s60                                // 000000005B40: 85153C24
	s_mov_b64 exec, s[20:21]                                   // 000000005B44: BEFE0114
	global_atomic_add_f32 v6, v50, s[8:9] offset:8             // 000000005B48: DD348008 00083206
	s_mov_b64 exec, s[36:37]                                   // 000000005B50: BEFE0124
	v_mov_b32_e32 v6, v41                                      // 000000005B54: 7E0C0329
	s_mov_b64 s[60:61], 0                                      // 000000005B58: BEBC0180
	v_readlane_b32 s82, v3, 6                                  // 000000005B5C: D2890052 00010D03
	s_and_b32 s82, s82, 0xffffff                               // 000000005B64: 8652FF52 00FFFFFF
	s_cmp_lt_u32 s82, s66                                      // 000000005B6C: BF0A4252
	s_cselect_b32 s20, s36, s60                                // 000000005B70: 85143C24
	v_readlane_b32 s82, v3, 7                                  // 000000005B74: D2890052 00010F03
	s_and_b32 s82, s82, 0xffffff                               // 000000005B7C: 8652FF52 00FFFFFF
	s_cmp_lt_u32 s82, s66                                      // 000000005B84: BF0A4252
	s_cselect_b32 s21, s36, s60                                // 000000005B88: 85153C24
	s_mov_b64 exec, s[20:21]                                   // 000000005B8C: BEFE0114
	global_atomic_add_f32 v6, v51, s[8:9] offset:8             // 000000005B90: DD348008 00083306
	s_mov_b64 exec, s[36:37]                                   // 000000005B98: BEFE0124
	ds_write_b64 v20, v[52:53]                                 // 000000005B9C: D89A0000 00003414
	ds_write_b64 v20, v[56:57] offset:2176                     // 000000005BA4: D89A0880 00003814
	s_waitcnt lgkmcnt(0)                                       // 000000005BAC: BF8CC07F
	s_barrier                                                  // 000000005BB0: BF8A0000
	ds_read_b32 v52, v21                                       // 000000005BB4: D86C0000 34000015
	ds_read_b32 v53, v21 offset:64                             // 000000005BBC: D86C0040 35000015
	ds_read_b32 v56, v21 offset:2176                           // 000000005BC4: D86C0880 38000015
	ds_read_b32 v57, v21 offset:2240                           // 000000005BCC: D86C08C0 39000015
	s_mul_i32 s60, s65, 4                                      // 000000005BD4: 923C8441
	s_add_u32 s8, s60, s8                                      // 000000005BD8: 8008083C
	s_addc_u32 s9, 0, s9                                       // 000000005BDC: 82090980
	s_waitcnt lgkmcnt(0)                                       // 000000005BE0: BF8CC07F
	v_mov_b32_e32 v7, 0                                        // 000000005BE4: 7E0E0280
	s_mov_b64 exec, s[36:37]                                   // 000000005BE8: BEFE0124
	v_mov_b32_e32 v6, v38                                      // 000000005BEC: 7E0C0326
	s_mov_b64 s[60:61], 0                                      // 000000005BF0: BEBC0180
	v_readlane_b32 s82, v3, 0                                  // 000000005BF4: D2890052 00010103
	s_and_b32 s82, s82, 0xffffff                               // 000000005BFC: 8652FF52 00FFFFFF
	s_cmp_lt_u32 s82, s66                                      // 000000005C04: BF0A4252
	s_cselect_b32 s20, s36, s60                                // 000000005C08: 85143C24
	v_readlane_b32 s82, v3, 1                                  // 000000005C0C: D2890052 00010303
	s_and_b32 s82, s82, 0xffffff                               // 000000005C14: 8652FF52 00FFFFFF
	s_cmp_lt_u32 s82, s66                                      // 000000005C1C: BF0A4252
	s_cselect_b32 s21, s36, s60                                // 000000005C20: 85153C24
	s_mov_b64 exec, s[20:21]                                   // 000000005C24: BEFE0114
	global_atomic_add_f32 v6, v52, s[8:9]                      // 000000005C28: DD348000 00083406
	s_mov_b64 exec, s[36:37]                                   // 000000005C30: BEFE0124
	v_mov_b32_e32 v6, v39                                      // 000000005C34: 7E0C0327
	s_mov_b64 s[60:61], 0                                      // 000000005C38: BEBC0180
	v_readlane_b32 s82, v3, 2                                  // 000000005C3C: D2890052 00010503
	s_and_b32 s82, s82, 0xffffff                               // 000000005C44: 8652FF52 00FFFFFF
	s_cmp_lt_u32 s82, s66                                      // 000000005C4C: BF0A4252
	s_cselect_b32 s20, s36, s60                                // 000000005C50: 85143C24
	v_readlane_b32 s82, v3, 3                                  // 000000005C54: D2890052 00010703
	s_and_b32 s82, s82, 0xffffff                               // 000000005C5C: 8652FF52 00FFFFFF
	s_cmp_lt_u32 s82, s66                                      // 000000005C64: BF0A4252
	s_cselect_b32 s21, s36, s60                                // 000000005C68: 85153C24
	s_mov_b64 exec, s[20:21]                                   // 000000005C6C: BEFE0114
	global_atomic_add_f32 v6, v53, s[8:9]                      // 000000005C70: DD348000 00083506
	s_mov_b64 exec, s[36:37]                                   // 000000005C78: BEFE0124
	v_mov_b32_e32 v6, v40                                      // 000000005C7C: 7E0C0328
	s_mov_b64 s[60:61], 0                                      // 000000005C80: BEBC0180
	v_readlane_b32 s82, v3, 4                                  // 000000005C84: D2890052 00010903
	s_and_b32 s82, s82, 0xffffff                               // 000000005C8C: 8652FF52 00FFFFFF
	s_cmp_lt_u32 s82, s66                                      // 000000005C94: BF0A4252
	s_cselect_b32 s20, s36, s60                                // 000000005C98: 85143C24
	v_readlane_b32 s82, v3, 5                                  // 000000005C9C: D2890052 00010B03
	s_and_b32 s82, s82, 0xffffff                               // 000000005CA4: 8652FF52 00FFFFFF
	s_cmp_lt_u32 s82, s66                                      // 000000005CAC: BF0A4252
	s_cselect_b32 s21, s36, s60                                // 000000005CB0: 85153C24
	s_mov_b64 exec, s[20:21]                                   // 000000005CB4: BEFE0114
	global_atomic_add_f32 v6, v56, s[8:9]                      // 000000005CB8: DD348000 00083806
	s_mov_b64 exec, s[36:37]                                   // 000000005CC0: BEFE0124
	v_mov_b32_e32 v6, v41                                      // 000000005CC4: 7E0C0329
	s_mov_b64 s[60:61], 0                                      // 000000005CC8: BEBC0180
	v_readlane_b32 s82, v3, 6                                  // 000000005CCC: D2890052 00010D03
	s_and_b32 s82, s82, 0xffffff                               // 000000005CD4: 8652FF52 00FFFFFF
	s_cmp_lt_u32 s82, s66                                      // 000000005CDC: BF0A4252
	s_cselect_b32 s20, s36, s60                                // 000000005CE0: 85143C24
	v_readlane_b32 s82, v3, 7                                  // 000000005CE4: D2890052 00010F03
	s_and_b32 s82, s82, 0xffffff                               // 000000005CEC: 8652FF52 00FFFFFF
	s_cmp_lt_u32 s82, s66                                      // 000000005CF4: BF0A4252
	s_cselect_b32 s21, s36, s60                                // 000000005CF8: 85153C24
	s_mov_b64 exec, s[20:21]                                   // 000000005CFC: BEFE0114
	global_atomic_add_f32 v6, v57, s[8:9]                      // 000000005D00: DD348000 00083906
	s_mov_b64 exec, s[36:37]                                   // 000000005D08: BEFE0124
	ds_write_b64 v20, v[54:55]                                 // 000000005D0C: D89A0000 00003614
	ds_write_b64 v20, v[58:59] offset:2176                     // 000000005D14: D89A0880 00003A14
	s_waitcnt lgkmcnt(0)                                       // 000000005D1C: BF8CC07F
	s_barrier                                                  // 000000005D20: BF8A0000
	ds_read_b32 v54, v21                                       // 000000005D24: D86C0000 36000015
	ds_read_b32 v55, v21 offset:64                             // 000000005D2C: D86C0040 37000015
	ds_read_b32 v58, v21 offset:2176                           // 000000005D34: D86C0880 3A000015
	ds_read_b32 v59, v21 offset:2240                           // 000000005D3C: D86C08C0 3B000015
	s_waitcnt lgkmcnt(0)                                       // 000000005D44: BF8CC07F
	v_mov_b32_e32 v7, 0                                        // 000000005D48: 7E0E0280
	s_mov_b64 exec, s[36:37]                                   // 000000005D4C: BEFE0124
	v_mov_b32_e32 v6, v38                                      // 000000005D50: 7E0C0326
	s_mov_b64 s[60:61], 0                                      // 000000005D54: BEBC0180
	v_readlane_b32 s82, v3, 0                                  // 000000005D58: D2890052 00010103
	s_and_b32 s82, s82, 0xffffff                               // 000000005D60: 8652FF52 00FFFFFF
	s_cmp_lt_u32 s82, s66                                      // 000000005D68: BF0A4252
	s_cselect_b32 s20, s36, s60                                // 000000005D6C: 85143C24
	v_readlane_b32 s82, v3, 1                                  // 000000005D70: D2890052 00010303
	s_and_b32 s82, s82, 0xffffff                               // 000000005D78: 8652FF52 00FFFFFF
	s_cmp_lt_u32 s82, s66                                      // 000000005D80: BF0A4252
	s_cselect_b32 s21, s36, s60                                // 000000005D84: 85153C24
	s_mov_b64 exec, s[20:21]                                   // 000000005D88: BEFE0114
	global_atomic_add_f32 v6, v54, s[8:9] offset:8             // 000000005D8C: DD348008 00083606
	s_mov_b64 exec, s[36:37]                                   // 000000005D94: BEFE0124
	v_mov_b32_e32 v6, v39                                      // 000000005D98: 7E0C0327
	s_mov_b64 s[60:61], 0                                      // 000000005D9C: BEBC0180
	v_readlane_b32 s82, v3, 2                                  // 000000005DA0: D2890052 00010503
	s_and_b32 s82, s82, 0xffffff                               // 000000005DA8: 8652FF52 00FFFFFF
	s_cmp_lt_u32 s82, s66                                      // 000000005DB0: BF0A4252
	s_cselect_b32 s20, s36, s60                                // 000000005DB4: 85143C24
	v_readlane_b32 s82, v3, 3                                  // 000000005DB8: D2890052 00010703
	s_and_b32 s82, s82, 0xffffff                               // 000000005DC0: 8652FF52 00FFFFFF
	s_cmp_lt_u32 s82, s66                                      // 000000005DC8: BF0A4252
	s_cselect_b32 s21, s36, s60                                // 000000005DCC: 85153C24
	s_mov_b64 exec, s[20:21]                                   // 000000005DD0: BEFE0114
	global_atomic_add_f32 v6, v55, s[8:9] offset:8             // 000000005DD4: DD348008 00083706
	s_mov_b64 exec, s[36:37]                                   // 000000005DDC: BEFE0124
	v_mov_b32_e32 v6, v40                                      // 000000005DE0: 7E0C0328
	s_mov_b64 s[60:61], 0                                      // 000000005DE4: BEBC0180
	v_readlane_b32 s82, v3, 4                                  // 000000005DE8: D2890052 00010903
	s_and_b32 s82, s82, 0xffffff                               // 000000005DF0: 8652FF52 00FFFFFF
	s_cmp_lt_u32 s82, s66                                      // 000000005DF8: BF0A4252
	s_cselect_b32 s20, s36, s60                                // 000000005DFC: 85143C24
	v_readlane_b32 s82, v3, 5                                  // 000000005E00: D2890052 00010B03
	s_and_b32 s82, s82, 0xffffff                               // 000000005E08: 8652FF52 00FFFFFF
	s_cmp_lt_u32 s82, s66                                      // 000000005E10: BF0A4252
	s_cselect_b32 s21, s36, s60                                // 000000005E14: 85153C24
	s_mov_b64 exec, s[20:21]                                   // 000000005E18: BEFE0114
	global_atomic_add_f32 v6, v58, s[8:9] offset:8             // 000000005E1C: DD348008 00083A06
	s_mov_b64 exec, s[36:37]                                   // 000000005E24: BEFE0124
	v_mov_b32_e32 v6, v41                                      // 000000005E28: 7E0C0329
	s_mov_b64 s[60:61], 0                                      // 000000005E2C: BEBC0180
	v_readlane_b32 s82, v3, 6                                  // 000000005E30: D2890052 00010D03
	s_and_b32 s82, s82, 0xffffff                               // 000000005E38: 8652FF52 00FFFFFF
	s_cmp_lt_u32 s82, s66                                      // 000000005E40: BF0A4252
	s_cselect_b32 s20, s36, s60                                // 000000005E44: 85143C24
	v_readlane_b32 s82, v3, 7                                  // 000000005E48: D2890052 00010F03
	s_and_b32 s82, s82, 0xffffff                               // 000000005E50: 8652FF52 00FFFFFF
	s_cmp_lt_u32 s82, s66                                      // 000000005E58: BF0A4252
	s_cselect_b32 s21, s36, s60                                // 000000005E5C: 85153C24
	s_mov_b64 exec, s[20:21]                                   // 000000005E60: BEFE0114
	global_atomic_add_f32 v6, v59, s[8:9] offset:8             // 000000005E64: DD348008 00083B06
	s_mov_b64 exec, s[36:37]                                   // 000000005E6C: BEFE0124
	s_branch label_0D20                                        // 000000005E70: BF820000

0000000000005e74 <label_0D20>:
	s_waitcnt vmcnt(0) expcnt(0) lgkmcnt(0)                    // 000000005E74: BF8C0000
	s_endpgm                                                   // 000000005E78: BF810000
